;; amdgpu-corpus repo=ROCm/hip-tests kind=compiled arch=gfx906 opt=O3
	.amdgcn_target "amdgcn-amd-amdhsa--gfx906"
	.amdhsa_code_object_version 6
	.section	.text._Z22testAtomicAdd_uniValueIfEvPT_Pb,"axG",@progbits,_Z22testAtomicAdd_uniValueIfEvPT_Pb,comdat
	.protected	_Z22testAtomicAdd_uniValueIfEvPT_Pb ; -- Begin function _Z22testAtomicAdd_uniValueIfEvPT_Pb
	.globl	_Z22testAtomicAdd_uniValueIfEvPT_Pb
	.p2align	8
	.type	_Z22testAtomicAdd_uniValueIfEvPT_Pb,@function
_Z22testAtomicAdd_uniValueIfEvPT_Pb:    ; @_Z22testAtomicAdd_uniValueIfEvPT_Pb
; %bb.0:
	s_load_dword s7, s[4:5], 0x1c
	s_load_dwordx4 s[0:3], s[4:5], 0x0
	s_waitcnt lgkmcnt(0)
	s_and_b32 s4, s7, 0xffff
	s_mul_i32 s6, s6, s4
	v_add_u32_e32 v0, s6, v0
	global_load_ubyte v0, v0, s[2:3]
	s_waitcnt vmcnt(0)
	v_and_b32_e32 v0, 1, v0
	v_cmp_eq_u32_e32 vcc, 1, v0
	s_and_saveexec_b64 s[2:3], vcc
	s_cbranch_execz .LBB0_4
; %bb.1:
	s_mov_b64 s[2:3], exec
	v_mbcnt_lo_u32_b32 v0, s2, 0
	v_mbcnt_hi_u32_b32 v0, s3, v0
	v_cmp_eq_u32_e32 vcc, 0, v0
	s_and_b64 s[4:5], exec, vcc
	s_mov_b64 exec, s[4:5]
	s_cbranch_execz .LBB0_4
; %bb.2:
	s_load_dword s4, s[0:1], 0x0
	s_bcnt1_i32_b64 s5, s[2:3]
	v_cvt_f32_ubyte0_e32 v0, s5
	s_mov_b64 s[2:3], 0
	v_mul_f32_e32 v2, 0x41200000, v0
	s_waitcnt lgkmcnt(0)
	v_mov_b32_e32 v1, s4
	v_mov_b32_e32 v3, 0
.LBB0_3:                                ; =>This Inner Loop Header: Depth=1
	v_add_f32_e32 v0, v1, v2
	global_atomic_cmpswap v0, v3, v[0:1], s[0:1] glc
	s_waitcnt vmcnt(0)
	v_cmp_eq_u32_e32 vcc, v0, v1
	s_or_b64 s[2:3], vcc, s[2:3]
	v_mov_b32_e32 v1, v0
	s_andn2_b64 exec, exec, s[2:3]
	s_cbranch_execnz .LBB0_3
.LBB0_4:
	s_endpgm
	.section	.rodata,"a",@progbits
	.p2align	6, 0x0
	.amdhsa_kernel _Z22testAtomicAdd_uniValueIfEvPT_Pb
		.amdhsa_group_segment_fixed_size 0
		.amdhsa_private_segment_fixed_size 0
		.amdhsa_kernarg_size 272
		.amdhsa_user_sgpr_count 6
		.amdhsa_user_sgpr_private_segment_buffer 1
		.amdhsa_user_sgpr_dispatch_ptr 0
		.amdhsa_user_sgpr_queue_ptr 0
		.amdhsa_user_sgpr_kernarg_segment_ptr 1
		.amdhsa_user_sgpr_dispatch_id 0
		.amdhsa_user_sgpr_flat_scratch_init 0
		.amdhsa_user_sgpr_private_segment_size 0
		.amdhsa_uses_dynamic_stack 0
		.amdhsa_system_sgpr_private_segment_wavefront_offset 0
		.amdhsa_system_sgpr_workgroup_id_x 1
		.amdhsa_system_sgpr_workgroup_id_y 0
		.amdhsa_system_sgpr_workgroup_id_z 0
		.amdhsa_system_sgpr_workgroup_info 0
		.amdhsa_system_vgpr_workitem_id 0
		.amdhsa_next_free_vgpr 4
		.amdhsa_next_free_sgpr 8
		.amdhsa_reserve_vcc 1
		.amdhsa_reserve_flat_scratch 0
		.amdhsa_float_round_mode_32 0
		.amdhsa_float_round_mode_16_64 0
		.amdhsa_float_denorm_mode_32 3
		.amdhsa_float_denorm_mode_16_64 3
		.amdhsa_dx10_clamp 1
		.amdhsa_ieee_mode 1
		.amdhsa_fp16_overflow 0
		.amdhsa_exception_fp_ieee_invalid_op 0
		.amdhsa_exception_fp_denorm_src 0
		.amdhsa_exception_fp_ieee_div_zero 0
		.amdhsa_exception_fp_ieee_overflow 0
		.amdhsa_exception_fp_ieee_underflow 0
		.amdhsa_exception_fp_ieee_inexact 0
		.amdhsa_exception_int_div_zero 0
	.end_amdhsa_kernel
	.section	.text._Z22testAtomicAdd_uniValueIfEvPT_Pb,"axG",@progbits,_Z22testAtomicAdd_uniValueIfEvPT_Pb,comdat
.Lfunc_end0:
	.size	_Z22testAtomicAdd_uniValueIfEvPT_Pb, .Lfunc_end0-_Z22testAtomicAdd_uniValueIfEvPT_Pb
                                        ; -- End function
	.set _Z22testAtomicAdd_uniValueIfEvPT_Pb.num_vgpr, 4
	.set _Z22testAtomicAdd_uniValueIfEvPT_Pb.num_agpr, 0
	.set _Z22testAtomicAdd_uniValueIfEvPT_Pb.numbered_sgpr, 8
	.set _Z22testAtomicAdd_uniValueIfEvPT_Pb.num_named_barrier, 0
	.set _Z22testAtomicAdd_uniValueIfEvPT_Pb.private_seg_size, 0
	.set _Z22testAtomicAdd_uniValueIfEvPT_Pb.uses_vcc, 1
	.set _Z22testAtomicAdd_uniValueIfEvPT_Pb.uses_flat_scratch, 0
	.set _Z22testAtomicAdd_uniValueIfEvPT_Pb.has_dyn_sized_stack, 0
	.set _Z22testAtomicAdd_uniValueIfEvPT_Pb.has_recursion, 0
	.set _Z22testAtomicAdd_uniValueIfEvPT_Pb.has_indirect_call, 0
	.section	.AMDGPU.csdata,"",@progbits
; Kernel info:
; codeLenInByte = 180
; TotalNumSgprs: 12
; NumVgprs: 4
; ScratchSize: 0
; MemoryBound: 0
; FloatMode: 240
; IeeeMode: 1
; LDSByteSize: 0 bytes/workgroup (compile time only)
; SGPRBlocks: 1
; VGPRBlocks: 0
; NumSGPRsForWavesPerEU: 12
; NumVGPRsForWavesPerEU: 4
; Occupancy: 10
; WaveLimiterHint : 0
; COMPUTE_PGM_RSRC2:SCRATCH_EN: 0
; COMPUTE_PGM_RSRC2:USER_SGPR: 6
; COMPUTE_PGM_RSRC2:TRAP_HANDLER: 0
; COMPUTE_PGM_RSRC2:TGID_X_EN: 1
; COMPUTE_PGM_RSRC2:TGID_Y_EN: 0
; COMPUTE_PGM_RSRC2:TGID_Z_EN: 0
; COMPUTE_PGM_RSRC2:TIDIG_COMP_CNT: 0
	.section	.text._Z22testAtomicSub_uniValueIfEvPT_Pb,"axG",@progbits,_Z22testAtomicSub_uniValueIfEvPT_Pb,comdat
	.protected	_Z22testAtomicSub_uniValueIfEvPT_Pb ; -- Begin function _Z22testAtomicSub_uniValueIfEvPT_Pb
	.globl	_Z22testAtomicSub_uniValueIfEvPT_Pb
	.p2align	8
	.type	_Z22testAtomicSub_uniValueIfEvPT_Pb,@function
_Z22testAtomicSub_uniValueIfEvPT_Pb:    ; @_Z22testAtomicSub_uniValueIfEvPT_Pb
; %bb.0:
	s_load_dword s7, s[4:5], 0x1c
	s_load_dwordx4 s[0:3], s[4:5], 0x0
	s_waitcnt lgkmcnt(0)
	s_and_b32 s4, s7, 0xffff
	s_mul_i32 s6, s6, s4
	v_add_u32_e32 v0, s6, v0
	global_load_ubyte v0, v0, s[2:3]
	s_waitcnt vmcnt(0)
	v_and_b32_e32 v0, 1, v0
	v_cmp_eq_u32_e32 vcc, 1, v0
	s_and_saveexec_b64 s[2:3], vcc
	s_cbranch_execz .LBB1_4
; %bb.1:
	s_mov_b64 s[2:3], exec
	v_mbcnt_lo_u32_b32 v0, s2, 0
	v_mbcnt_hi_u32_b32 v0, s3, v0
	v_cmp_eq_u32_e32 vcc, 0, v0
	s_and_b64 s[4:5], exec, vcc
	s_mov_b64 exec, s[4:5]
	s_cbranch_execz .LBB1_4
; %bb.2:
	s_load_dword s4, s[0:1], 0x4
	s_bcnt1_i32_b64 s5, s[2:3]
	v_cvt_f32_ubyte0_e32 v0, s5
	s_mov_b64 s[2:3], 0
	v_mul_f32_e32 v2, 0xc1200000, v0
	s_waitcnt lgkmcnt(0)
	v_mov_b32_e32 v1, s4
	v_mov_b32_e32 v3, 0
.LBB1_3:                                ; =>This Inner Loop Header: Depth=1
	v_add_f32_e32 v0, v1, v2
	global_atomic_cmpswap v0, v3, v[0:1], s[0:1] offset:4 glc
	s_waitcnt vmcnt(0)
	v_cmp_eq_u32_e32 vcc, v0, v1
	s_or_b64 s[2:3], vcc, s[2:3]
	v_mov_b32_e32 v1, v0
	s_andn2_b64 exec, exec, s[2:3]
	s_cbranch_execnz .LBB1_3
.LBB1_4:
	s_endpgm
	.section	.rodata,"a",@progbits
	.p2align	6, 0x0
	.amdhsa_kernel _Z22testAtomicSub_uniValueIfEvPT_Pb
		.amdhsa_group_segment_fixed_size 0
		.amdhsa_private_segment_fixed_size 0
		.amdhsa_kernarg_size 272
		.amdhsa_user_sgpr_count 6
		.amdhsa_user_sgpr_private_segment_buffer 1
		.amdhsa_user_sgpr_dispatch_ptr 0
		.amdhsa_user_sgpr_queue_ptr 0
		.amdhsa_user_sgpr_kernarg_segment_ptr 1
		.amdhsa_user_sgpr_dispatch_id 0
		.amdhsa_user_sgpr_flat_scratch_init 0
		.amdhsa_user_sgpr_private_segment_size 0
		.amdhsa_uses_dynamic_stack 0
		.amdhsa_system_sgpr_private_segment_wavefront_offset 0
		.amdhsa_system_sgpr_workgroup_id_x 1
		.amdhsa_system_sgpr_workgroup_id_y 0
		.amdhsa_system_sgpr_workgroup_id_z 0
		.amdhsa_system_sgpr_workgroup_info 0
		.amdhsa_system_vgpr_workitem_id 0
		.amdhsa_next_free_vgpr 4
		.amdhsa_next_free_sgpr 8
		.amdhsa_reserve_vcc 1
		.amdhsa_reserve_flat_scratch 0
		.amdhsa_float_round_mode_32 0
		.amdhsa_float_round_mode_16_64 0
		.amdhsa_float_denorm_mode_32 3
		.amdhsa_float_denorm_mode_16_64 3
		.amdhsa_dx10_clamp 1
		.amdhsa_ieee_mode 1
		.amdhsa_fp16_overflow 0
		.amdhsa_exception_fp_ieee_invalid_op 0
		.amdhsa_exception_fp_denorm_src 0
		.amdhsa_exception_fp_ieee_div_zero 0
		.amdhsa_exception_fp_ieee_overflow 0
		.amdhsa_exception_fp_ieee_underflow 0
		.amdhsa_exception_fp_ieee_inexact 0
		.amdhsa_exception_int_div_zero 0
	.end_amdhsa_kernel
	.section	.text._Z22testAtomicSub_uniValueIfEvPT_Pb,"axG",@progbits,_Z22testAtomicSub_uniValueIfEvPT_Pb,comdat
.Lfunc_end1:
	.size	_Z22testAtomicSub_uniValueIfEvPT_Pb, .Lfunc_end1-_Z22testAtomicSub_uniValueIfEvPT_Pb
                                        ; -- End function
	.set _Z22testAtomicSub_uniValueIfEvPT_Pb.num_vgpr, 4
	.set _Z22testAtomicSub_uniValueIfEvPT_Pb.num_agpr, 0
	.set _Z22testAtomicSub_uniValueIfEvPT_Pb.numbered_sgpr, 8
	.set _Z22testAtomicSub_uniValueIfEvPT_Pb.num_named_barrier, 0
	.set _Z22testAtomicSub_uniValueIfEvPT_Pb.private_seg_size, 0
	.set _Z22testAtomicSub_uniValueIfEvPT_Pb.uses_vcc, 1
	.set _Z22testAtomicSub_uniValueIfEvPT_Pb.uses_flat_scratch, 0
	.set _Z22testAtomicSub_uniValueIfEvPT_Pb.has_dyn_sized_stack, 0
	.set _Z22testAtomicSub_uniValueIfEvPT_Pb.has_recursion, 0
	.set _Z22testAtomicSub_uniValueIfEvPT_Pb.has_indirect_call, 0
	.section	.AMDGPU.csdata,"",@progbits
; Kernel info:
; codeLenInByte = 180
; TotalNumSgprs: 12
; NumVgprs: 4
; ScratchSize: 0
; MemoryBound: 0
; FloatMode: 240
; IeeeMode: 1
; LDSByteSize: 0 bytes/workgroup (compile time only)
; SGPRBlocks: 1
; VGPRBlocks: 0
; NumSGPRsForWavesPerEU: 12
; NumVGPRsForWavesPerEU: 4
; Occupancy: 10
; WaveLimiterHint : 0
; COMPUTE_PGM_RSRC2:SCRATCH_EN: 0
; COMPUTE_PGM_RSRC2:USER_SGPR: 6
; COMPUTE_PGM_RSRC2:TRAP_HANDLER: 0
; COMPUTE_PGM_RSRC2:TGID_X_EN: 1
; COMPUTE_PGM_RSRC2:TGID_Y_EN: 0
; COMPUTE_PGM_RSRC2:TGID_Z_EN: 0
; COMPUTE_PGM_RSRC2:TIDIG_COMP_CNT: 0
	.section	.text._Z22testAtomicMax_uniValueIfEvPT_Pb,"axG",@progbits,_Z22testAtomicMax_uniValueIfEvPT_Pb,comdat
	.protected	_Z22testAtomicMax_uniValueIfEvPT_Pb ; -- Begin function _Z22testAtomicMax_uniValueIfEvPT_Pb
	.globl	_Z22testAtomicMax_uniValueIfEvPT_Pb
	.p2align	8
	.type	_Z22testAtomicMax_uniValueIfEvPT_Pb,@function
_Z22testAtomicMax_uniValueIfEvPT_Pb:    ; @_Z22testAtomicMax_uniValueIfEvPT_Pb
; %bb.0:
	s_load_dword s7, s[4:5], 0x1c
	s_load_dwordx4 s[0:3], s[4:5], 0x0
	s_waitcnt lgkmcnt(0)
	s_and_b32 s4, s7, 0xffff
	s_mul_i32 s6, s6, s4
	v_add_u32_e32 v0, s6, v0
	global_load_ubyte v0, v0, s[2:3]
	s_waitcnt vmcnt(0)
	v_and_b32_e32 v0, 1, v0
	v_cmp_eq_u32_e32 vcc, 1, v0
	s_and_saveexec_b64 s[2:3], vcc
	s_cbranch_execz .LBB2_4
; %bb.1:
	v_mbcnt_lo_u32_b32 v0, exec_lo, 0
	v_mbcnt_hi_u32_b32 v0, exec_hi, v0
	v_cmp_eq_u32_e32 vcc, 0, v0
	s_and_b64 exec, exec, vcc
	s_cbranch_execz .LBB2_4
; %bb.2:
	s_load_dword s4, s[0:1], 0x8
	s_mov_b64 s[2:3], 0
	v_mov_b32_e32 v2, 0
	s_waitcnt lgkmcnt(0)
	v_mov_b32_e32 v1, s4
.LBB2_3:                                ; =>This Inner Loop Header: Depth=1
	v_max_f32_e32 v0, v1, v1
	v_max_f32_e32 v0, 0x41200000, v0
	global_atomic_cmpswap v0, v2, v[0:1], s[0:1] offset:8 glc
	s_waitcnt vmcnt(0)
	v_cmp_eq_u32_e32 vcc, v0, v1
	s_or_b64 s[2:3], vcc, s[2:3]
	v_mov_b32_e32 v1, v0
	s_andn2_b64 exec, exec, s[2:3]
	s_cbranch_execnz .LBB2_3
.LBB2_4:
	s_endpgm
	.section	.rodata,"a",@progbits
	.p2align	6, 0x0
	.amdhsa_kernel _Z22testAtomicMax_uniValueIfEvPT_Pb
		.amdhsa_group_segment_fixed_size 0
		.amdhsa_private_segment_fixed_size 0
		.amdhsa_kernarg_size 272
		.amdhsa_user_sgpr_count 6
		.amdhsa_user_sgpr_private_segment_buffer 1
		.amdhsa_user_sgpr_dispatch_ptr 0
		.amdhsa_user_sgpr_queue_ptr 0
		.amdhsa_user_sgpr_kernarg_segment_ptr 1
		.amdhsa_user_sgpr_dispatch_id 0
		.amdhsa_user_sgpr_flat_scratch_init 0
		.amdhsa_user_sgpr_private_segment_size 0
		.amdhsa_uses_dynamic_stack 0
		.amdhsa_system_sgpr_private_segment_wavefront_offset 0
		.amdhsa_system_sgpr_workgroup_id_x 1
		.amdhsa_system_sgpr_workgroup_id_y 0
		.amdhsa_system_sgpr_workgroup_id_z 0
		.amdhsa_system_sgpr_workgroup_info 0
		.amdhsa_system_vgpr_workitem_id 0
		.amdhsa_next_free_vgpr 3
		.amdhsa_next_free_sgpr 8
		.amdhsa_reserve_vcc 1
		.amdhsa_reserve_flat_scratch 0
		.amdhsa_float_round_mode_32 0
		.amdhsa_float_round_mode_16_64 0
		.amdhsa_float_denorm_mode_32 3
		.amdhsa_float_denorm_mode_16_64 3
		.amdhsa_dx10_clamp 1
		.amdhsa_ieee_mode 1
		.amdhsa_fp16_overflow 0
		.amdhsa_exception_fp_ieee_invalid_op 0
		.amdhsa_exception_fp_denorm_src 0
		.amdhsa_exception_fp_ieee_div_zero 0
		.amdhsa_exception_fp_ieee_overflow 0
		.amdhsa_exception_fp_ieee_underflow 0
		.amdhsa_exception_fp_ieee_inexact 0
		.amdhsa_exception_int_div_zero 0
	.end_amdhsa_kernel
	.section	.text._Z22testAtomicMax_uniValueIfEvPT_Pb,"axG",@progbits,_Z22testAtomicMax_uniValueIfEvPT_Pb,comdat
.Lfunc_end2:
	.size	_Z22testAtomicMax_uniValueIfEvPT_Pb, .Lfunc_end2-_Z22testAtomicMax_uniValueIfEvPT_Pb
                                        ; -- End function
	.set _Z22testAtomicMax_uniValueIfEvPT_Pb.num_vgpr, 3
	.set _Z22testAtomicMax_uniValueIfEvPT_Pb.num_agpr, 0
	.set _Z22testAtomicMax_uniValueIfEvPT_Pb.numbered_sgpr, 8
	.set _Z22testAtomicMax_uniValueIfEvPT_Pb.num_named_barrier, 0
	.set _Z22testAtomicMax_uniValueIfEvPT_Pb.private_seg_size, 0
	.set _Z22testAtomicMax_uniValueIfEvPT_Pb.uses_vcc, 1
	.set _Z22testAtomicMax_uniValueIfEvPT_Pb.uses_flat_scratch, 0
	.set _Z22testAtomicMax_uniValueIfEvPT_Pb.has_dyn_sized_stack, 0
	.set _Z22testAtomicMax_uniValueIfEvPT_Pb.has_recursion, 0
	.set _Z22testAtomicMax_uniValueIfEvPT_Pb.has_indirect_call, 0
	.section	.AMDGPU.csdata,"",@progbits
; Kernel info:
; codeLenInByte = 164
; TotalNumSgprs: 12
; NumVgprs: 3
; ScratchSize: 0
; MemoryBound: 0
; FloatMode: 240
; IeeeMode: 1
; LDSByteSize: 0 bytes/workgroup (compile time only)
; SGPRBlocks: 1
; VGPRBlocks: 0
; NumSGPRsForWavesPerEU: 12
; NumVGPRsForWavesPerEU: 3
; Occupancy: 10
; WaveLimiterHint : 0
; COMPUTE_PGM_RSRC2:SCRATCH_EN: 0
; COMPUTE_PGM_RSRC2:USER_SGPR: 6
; COMPUTE_PGM_RSRC2:TRAP_HANDLER: 0
; COMPUTE_PGM_RSRC2:TGID_X_EN: 1
; COMPUTE_PGM_RSRC2:TGID_Y_EN: 0
; COMPUTE_PGM_RSRC2:TGID_Z_EN: 0
; COMPUTE_PGM_RSRC2:TIDIG_COMP_CNT: 0
	.section	.text._Z22testAtomicMin_uniValueIfEvPT_Pb,"axG",@progbits,_Z22testAtomicMin_uniValueIfEvPT_Pb,comdat
	.protected	_Z22testAtomicMin_uniValueIfEvPT_Pb ; -- Begin function _Z22testAtomicMin_uniValueIfEvPT_Pb
	.globl	_Z22testAtomicMin_uniValueIfEvPT_Pb
	.p2align	8
	.type	_Z22testAtomicMin_uniValueIfEvPT_Pb,@function
_Z22testAtomicMin_uniValueIfEvPT_Pb:    ; @_Z22testAtomicMin_uniValueIfEvPT_Pb
; %bb.0:
	s_load_dword s7, s[4:5], 0x1c
	s_load_dwordx4 s[0:3], s[4:5], 0x0
	s_waitcnt lgkmcnt(0)
	s_and_b32 s4, s7, 0xffff
	s_mul_i32 s6, s6, s4
	v_add_u32_e32 v0, s6, v0
	global_load_ubyte v0, v0, s[2:3]
	s_waitcnt vmcnt(0)
	v_and_b32_e32 v0, 1, v0
	v_cmp_eq_u32_e32 vcc, 1, v0
	s_and_saveexec_b64 s[2:3], vcc
	s_cbranch_execz .LBB3_4
; %bb.1:
	v_mbcnt_lo_u32_b32 v0, exec_lo, 0
	v_mbcnt_hi_u32_b32 v0, exec_hi, v0
	v_cmp_eq_u32_e32 vcc, 0, v0
	s_and_b64 exec, exec, vcc
	s_cbranch_execz .LBB3_4
; %bb.2:
	s_load_dword s4, s[0:1], 0xc
	s_mov_b64 s[2:3], 0
	v_mov_b32_e32 v2, 0
	s_waitcnt lgkmcnt(0)
	v_mov_b32_e32 v1, s4
.LBB3_3:                                ; =>This Inner Loop Header: Depth=1
	v_max_f32_e32 v0, v1, v1
	v_min_f32_e32 v0, 0x41200000, v0
	global_atomic_cmpswap v0, v2, v[0:1], s[0:1] offset:12 glc
	s_waitcnt vmcnt(0)
	v_cmp_eq_u32_e32 vcc, v0, v1
	s_or_b64 s[2:3], vcc, s[2:3]
	v_mov_b32_e32 v1, v0
	s_andn2_b64 exec, exec, s[2:3]
	s_cbranch_execnz .LBB3_3
.LBB3_4:
	s_endpgm
	.section	.rodata,"a",@progbits
	.p2align	6, 0x0
	.amdhsa_kernel _Z22testAtomicMin_uniValueIfEvPT_Pb
		.amdhsa_group_segment_fixed_size 0
		.amdhsa_private_segment_fixed_size 0
		.amdhsa_kernarg_size 272
		.amdhsa_user_sgpr_count 6
		.amdhsa_user_sgpr_private_segment_buffer 1
		.amdhsa_user_sgpr_dispatch_ptr 0
		.amdhsa_user_sgpr_queue_ptr 0
		.amdhsa_user_sgpr_kernarg_segment_ptr 1
		.amdhsa_user_sgpr_dispatch_id 0
		.amdhsa_user_sgpr_flat_scratch_init 0
		.amdhsa_user_sgpr_private_segment_size 0
		.amdhsa_uses_dynamic_stack 0
		.amdhsa_system_sgpr_private_segment_wavefront_offset 0
		.amdhsa_system_sgpr_workgroup_id_x 1
		.amdhsa_system_sgpr_workgroup_id_y 0
		.amdhsa_system_sgpr_workgroup_id_z 0
		.amdhsa_system_sgpr_workgroup_info 0
		.amdhsa_system_vgpr_workitem_id 0
		.amdhsa_next_free_vgpr 3
		.amdhsa_next_free_sgpr 8
		.amdhsa_reserve_vcc 1
		.amdhsa_reserve_flat_scratch 0
		.amdhsa_float_round_mode_32 0
		.amdhsa_float_round_mode_16_64 0
		.amdhsa_float_denorm_mode_32 3
		.amdhsa_float_denorm_mode_16_64 3
		.amdhsa_dx10_clamp 1
		.amdhsa_ieee_mode 1
		.amdhsa_fp16_overflow 0
		.amdhsa_exception_fp_ieee_invalid_op 0
		.amdhsa_exception_fp_denorm_src 0
		.amdhsa_exception_fp_ieee_div_zero 0
		.amdhsa_exception_fp_ieee_overflow 0
		.amdhsa_exception_fp_ieee_underflow 0
		.amdhsa_exception_fp_ieee_inexact 0
		.amdhsa_exception_int_div_zero 0
	.end_amdhsa_kernel
	.section	.text._Z22testAtomicMin_uniValueIfEvPT_Pb,"axG",@progbits,_Z22testAtomicMin_uniValueIfEvPT_Pb,comdat
.Lfunc_end3:
	.size	_Z22testAtomicMin_uniValueIfEvPT_Pb, .Lfunc_end3-_Z22testAtomicMin_uniValueIfEvPT_Pb
                                        ; -- End function
	.set _Z22testAtomicMin_uniValueIfEvPT_Pb.num_vgpr, 3
	.set _Z22testAtomicMin_uniValueIfEvPT_Pb.num_agpr, 0
	.set _Z22testAtomicMin_uniValueIfEvPT_Pb.numbered_sgpr, 8
	.set _Z22testAtomicMin_uniValueIfEvPT_Pb.num_named_barrier, 0
	.set _Z22testAtomicMin_uniValueIfEvPT_Pb.private_seg_size, 0
	.set _Z22testAtomicMin_uniValueIfEvPT_Pb.uses_vcc, 1
	.set _Z22testAtomicMin_uniValueIfEvPT_Pb.uses_flat_scratch, 0
	.set _Z22testAtomicMin_uniValueIfEvPT_Pb.has_dyn_sized_stack, 0
	.set _Z22testAtomicMin_uniValueIfEvPT_Pb.has_recursion, 0
	.set _Z22testAtomicMin_uniValueIfEvPT_Pb.has_indirect_call, 0
	.section	.AMDGPU.csdata,"",@progbits
; Kernel info:
; codeLenInByte = 164
; TotalNumSgprs: 12
; NumVgprs: 3
; ScratchSize: 0
; MemoryBound: 0
; FloatMode: 240
; IeeeMode: 1
; LDSByteSize: 0 bytes/workgroup (compile time only)
; SGPRBlocks: 1
; VGPRBlocks: 0
; NumSGPRsForWavesPerEU: 12
; NumVGPRsForWavesPerEU: 3
; Occupancy: 10
; WaveLimiterHint : 0
; COMPUTE_PGM_RSRC2:SCRATCH_EN: 0
; COMPUTE_PGM_RSRC2:USER_SGPR: 6
; COMPUTE_PGM_RSRC2:TRAP_HANDLER: 0
; COMPUTE_PGM_RSRC2:TGID_X_EN: 1
; COMPUTE_PGM_RSRC2:TGID_Y_EN: 0
; COMPUTE_PGM_RSRC2:TGID_Z_EN: 0
; COMPUTE_PGM_RSRC2:TIDIG_COMP_CNT: 0
	.section	.text._Z22testAtomicAdd_divValueIfEvPT_PbS1_,"axG",@progbits,_Z22testAtomicAdd_divValueIfEvPT_PbS1_,comdat
	.protected	_Z22testAtomicAdd_divValueIfEvPT_PbS1_ ; -- Begin function _Z22testAtomicAdd_divValueIfEvPT_PbS1_
	.globl	_Z22testAtomicAdd_divValueIfEvPT_PbS1_
	.p2align	8
	.type	_Z22testAtomicAdd_divValueIfEvPT_PbS1_,@function
_Z22testAtomicAdd_divValueIfEvPT_PbS1_: ; @_Z22testAtomicAdd_divValueIfEvPT_PbS1_
; %bb.0:
	s_load_dword s7, s[4:5], 0x24
	s_load_dwordx4 s[0:3], s[4:5], 0x0
	s_waitcnt lgkmcnt(0)
	s_and_b32 s7, s7, 0xffff
	s_mul_i32 s6, s6, s7
	v_add_u32_e32 v0, s6, v0
	global_load_ubyte v1, v0, s[2:3]
	s_waitcnt vmcnt(0)
	v_and_b32_e32 v1, 1, v1
	v_cmp_eq_u32_e32 vcc, 1, v1
	s_and_saveexec_b64 s[2:3], vcc
	s_cbranch_execz .LBB4_6
; %bb.1:
	s_load_dwordx2 s[4:5], s[4:5], 0x10
	v_mov_b32_e32 v1, 0
	v_lshlrev_b64 v[0:1], 2, v[0:1]
	s_mov_b64 s[2:3], exec
	s_waitcnt lgkmcnt(0)
	v_mov_b32_e32 v2, s5
	v_add_co_u32_e32 v0, vcc, s4, v0
	v_addc_co_u32_e32 v1, vcc, v2, v1, vcc
	global_load_dword v0, v[0:1], off
	v_bfrev_b32_e32 v2, 1
.LBB4_2:                                ; =>This Inner Loop Header: Depth=1
	s_ff1_i32_b64 s4, s[2:3]
	s_waitcnt vmcnt(0)
	v_readlane_b32 s6, v0, s4
	s_lshl_b64 s[4:5], 1, s4
	s_andn2_b64 s[2:3], s[2:3], s[4:5]
	s_cmp_lg_u64 s[2:3], 0
	v_add_f32_e32 v2, s6, v2
	s_cbranch_scc1 .LBB4_2
; %bb.3:
	v_mbcnt_lo_u32_b32 v0, exec_lo, 0
	v_mbcnt_hi_u32_b32 v0, exec_hi, v0
	v_cmp_eq_u32_e32 vcc, 0, v0
	s_and_saveexec_b64 s[2:3], vcc
	s_xor_b64 s[2:3], exec, s[2:3]
	s_cbranch_execz .LBB4_6
; %bb.4:
	s_load_dword s4, s[0:1], 0x0
	s_mov_b64 s[2:3], 0
	v_mov_b32_e32 v3, 0
	s_waitcnt lgkmcnt(0)
	v_mov_b32_e32 v1, s4
.LBB4_5:                                ; =>This Inner Loop Header: Depth=1
	v_add_f32_e32 v0, v1, v2
	global_atomic_cmpswap v0, v3, v[0:1], s[0:1] glc
	s_waitcnt vmcnt(0)
	v_cmp_eq_u32_e32 vcc, v0, v1
	s_or_b64 s[2:3], vcc, s[2:3]
	v_mov_b32_e32 v1, v0
	s_andn2_b64 exec, exec, s[2:3]
	s_cbranch_execnz .LBB4_5
.LBB4_6:
	s_endpgm
	.section	.rodata,"a",@progbits
	.p2align	6, 0x0
	.amdhsa_kernel _Z22testAtomicAdd_divValueIfEvPT_PbS1_
		.amdhsa_group_segment_fixed_size 0
		.amdhsa_private_segment_fixed_size 0
		.amdhsa_kernarg_size 280
		.amdhsa_user_sgpr_count 6
		.amdhsa_user_sgpr_private_segment_buffer 1
		.amdhsa_user_sgpr_dispatch_ptr 0
		.amdhsa_user_sgpr_queue_ptr 0
		.amdhsa_user_sgpr_kernarg_segment_ptr 1
		.amdhsa_user_sgpr_dispatch_id 0
		.amdhsa_user_sgpr_flat_scratch_init 0
		.amdhsa_user_sgpr_private_segment_size 0
		.amdhsa_uses_dynamic_stack 0
		.amdhsa_system_sgpr_private_segment_wavefront_offset 0
		.amdhsa_system_sgpr_workgroup_id_x 1
		.amdhsa_system_sgpr_workgroup_id_y 0
		.amdhsa_system_sgpr_workgroup_id_z 0
		.amdhsa_system_sgpr_workgroup_info 0
		.amdhsa_system_vgpr_workitem_id 0
		.amdhsa_next_free_vgpr 4
		.amdhsa_next_free_sgpr 8
		.amdhsa_reserve_vcc 1
		.amdhsa_reserve_flat_scratch 0
		.amdhsa_float_round_mode_32 0
		.amdhsa_float_round_mode_16_64 0
		.amdhsa_float_denorm_mode_32 3
		.amdhsa_float_denorm_mode_16_64 3
		.amdhsa_dx10_clamp 1
		.amdhsa_ieee_mode 1
		.amdhsa_fp16_overflow 0
		.amdhsa_exception_fp_ieee_invalid_op 0
		.amdhsa_exception_fp_denorm_src 0
		.amdhsa_exception_fp_ieee_div_zero 0
		.amdhsa_exception_fp_ieee_overflow 0
		.amdhsa_exception_fp_ieee_underflow 0
		.amdhsa_exception_fp_ieee_inexact 0
		.amdhsa_exception_int_div_zero 0
	.end_amdhsa_kernel
	.section	.text._Z22testAtomicAdd_divValueIfEvPT_PbS1_,"axG",@progbits,_Z22testAtomicAdd_divValueIfEvPT_PbS1_,comdat
.Lfunc_end4:
	.size	_Z22testAtomicAdd_divValueIfEvPT_PbS1_, .Lfunc_end4-_Z22testAtomicAdd_divValueIfEvPT_PbS1_
                                        ; -- End function
	.set _Z22testAtomicAdd_divValueIfEvPT_PbS1_.num_vgpr, 4
	.set _Z22testAtomicAdd_divValueIfEvPT_PbS1_.num_agpr, 0
	.set _Z22testAtomicAdd_divValueIfEvPT_PbS1_.numbered_sgpr, 8
	.set _Z22testAtomicAdd_divValueIfEvPT_PbS1_.num_named_barrier, 0
	.set _Z22testAtomicAdd_divValueIfEvPT_PbS1_.private_seg_size, 0
	.set _Z22testAtomicAdd_divValueIfEvPT_PbS1_.uses_vcc, 1
	.set _Z22testAtomicAdd_divValueIfEvPT_PbS1_.uses_flat_scratch, 0
	.set _Z22testAtomicAdd_divValueIfEvPT_PbS1_.has_dyn_sized_stack, 0
	.set _Z22testAtomicAdd_divValueIfEvPT_PbS1_.has_recursion, 0
	.set _Z22testAtomicAdd_divValueIfEvPT_PbS1_.has_indirect_call, 0
	.section	.AMDGPU.csdata,"",@progbits
; Kernel info:
; codeLenInByte = 248
; TotalNumSgprs: 12
; NumVgprs: 4
; ScratchSize: 0
; MemoryBound: 0
; FloatMode: 240
; IeeeMode: 1
; LDSByteSize: 0 bytes/workgroup (compile time only)
; SGPRBlocks: 1
; VGPRBlocks: 0
; NumSGPRsForWavesPerEU: 12
; NumVGPRsForWavesPerEU: 4
; Occupancy: 10
; WaveLimiterHint : 0
; COMPUTE_PGM_RSRC2:SCRATCH_EN: 0
; COMPUTE_PGM_RSRC2:USER_SGPR: 6
; COMPUTE_PGM_RSRC2:TRAP_HANDLER: 0
; COMPUTE_PGM_RSRC2:TGID_X_EN: 1
; COMPUTE_PGM_RSRC2:TGID_Y_EN: 0
; COMPUTE_PGM_RSRC2:TGID_Z_EN: 0
; COMPUTE_PGM_RSRC2:TIDIG_COMP_CNT: 0
	.section	.text._Z22testAtomicSub_divValueIfEvPT_PbS1_,"axG",@progbits,_Z22testAtomicSub_divValueIfEvPT_PbS1_,comdat
	.protected	_Z22testAtomicSub_divValueIfEvPT_PbS1_ ; -- Begin function _Z22testAtomicSub_divValueIfEvPT_PbS1_
	.globl	_Z22testAtomicSub_divValueIfEvPT_PbS1_
	.p2align	8
	.type	_Z22testAtomicSub_divValueIfEvPT_PbS1_,@function
_Z22testAtomicSub_divValueIfEvPT_PbS1_: ; @_Z22testAtomicSub_divValueIfEvPT_PbS1_
; %bb.0:
	s_load_dword s7, s[4:5], 0x24
	s_load_dwordx4 s[0:3], s[4:5], 0x0
	s_waitcnt lgkmcnt(0)
	s_and_b32 s7, s7, 0xffff
	s_mul_i32 s6, s6, s7
	v_add_u32_e32 v0, s6, v0
	global_load_ubyte v1, v0, s[2:3]
	s_waitcnt vmcnt(0)
	v_and_b32_e32 v1, 1, v1
	v_cmp_eq_u32_e32 vcc, 1, v1
	s_and_saveexec_b64 s[2:3], vcc
	s_cbranch_execz .LBB5_6
; %bb.1:
	s_load_dwordx2 s[4:5], s[4:5], 0x10
	v_mov_b32_e32 v1, 0
	v_lshlrev_b64 v[0:1], 2, v[0:1]
	s_mov_b64 s[2:3], exec
	s_waitcnt lgkmcnt(0)
	v_mov_b32_e32 v2, s5
	v_add_co_u32_e32 v0, vcc, s4, v0
	v_addc_co_u32_e32 v1, vcc, v2, v1, vcc
	global_load_dword v0, v[0:1], off
	v_bfrev_b32_e32 v2, 1
	s_waitcnt vmcnt(0)
	v_xor_b32_e32 v0, 0x80000000, v0
.LBB5_2:                                ; =>This Inner Loop Header: Depth=1
	s_ff1_i32_b64 s4, s[2:3]
	v_readlane_b32 s6, v0, s4
	s_lshl_b64 s[4:5], 1, s4
	s_andn2_b64 s[2:3], s[2:3], s[4:5]
	s_cmp_lg_u64 s[2:3], 0
	v_add_f32_e32 v2, s6, v2
	s_cbranch_scc1 .LBB5_2
; %bb.3:
	v_mbcnt_lo_u32_b32 v0, exec_lo, 0
	v_mbcnt_hi_u32_b32 v0, exec_hi, v0
	v_cmp_eq_u32_e32 vcc, 0, v0
	s_and_saveexec_b64 s[2:3], vcc
	s_xor_b64 s[2:3], exec, s[2:3]
	s_cbranch_execz .LBB5_6
; %bb.4:
	s_load_dword s4, s[0:1], 0x4
	s_mov_b64 s[2:3], 0
	v_mov_b32_e32 v3, 0
	s_waitcnt lgkmcnt(0)
	v_mov_b32_e32 v1, s4
.LBB5_5:                                ; =>This Inner Loop Header: Depth=1
	v_add_f32_e32 v0, v1, v2
	global_atomic_cmpswap v0, v3, v[0:1], s[0:1] offset:4 glc
	s_waitcnt vmcnt(0)
	v_cmp_eq_u32_e32 vcc, v0, v1
	s_or_b64 s[2:3], vcc, s[2:3]
	v_mov_b32_e32 v1, v0
	s_andn2_b64 exec, exec, s[2:3]
	s_cbranch_execnz .LBB5_5
.LBB5_6:
	s_endpgm
	.section	.rodata,"a",@progbits
	.p2align	6, 0x0
	.amdhsa_kernel _Z22testAtomicSub_divValueIfEvPT_PbS1_
		.amdhsa_group_segment_fixed_size 0
		.amdhsa_private_segment_fixed_size 0
		.amdhsa_kernarg_size 280
		.amdhsa_user_sgpr_count 6
		.amdhsa_user_sgpr_private_segment_buffer 1
		.amdhsa_user_sgpr_dispatch_ptr 0
		.amdhsa_user_sgpr_queue_ptr 0
		.amdhsa_user_sgpr_kernarg_segment_ptr 1
		.amdhsa_user_sgpr_dispatch_id 0
		.amdhsa_user_sgpr_flat_scratch_init 0
		.amdhsa_user_sgpr_private_segment_size 0
		.amdhsa_uses_dynamic_stack 0
		.amdhsa_system_sgpr_private_segment_wavefront_offset 0
		.amdhsa_system_sgpr_workgroup_id_x 1
		.amdhsa_system_sgpr_workgroup_id_y 0
		.amdhsa_system_sgpr_workgroup_id_z 0
		.amdhsa_system_sgpr_workgroup_info 0
		.amdhsa_system_vgpr_workitem_id 0
		.amdhsa_next_free_vgpr 4
		.amdhsa_next_free_sgpr 8
		.amdhsa_reserve_vcc 1
		.amdhsa_reserve_flat_scratch 0
		.amdhsa_float_round_mode_32 0
		.amdhsa_float_round_mode_16_64 0
		.amdhsa_float_denorm_mode_32 3
		.amdhsa_float_denorm_mode_16_64 3
		.amdhsa_dx10_clamp 1
		.amdhsa_ieee_mode 1
		.amdhsa_fp16_overflow 0
		.amdhsa_exception_fp_ieee_invalid_op 0
		.amdhsa_exception_fp_denorm_src 0
		.amdhsa_exception_fp_ieee_div_zero 0
		.amdhsa_exception_fp_ieee_overflow 0
		.amdhsa_exception_fp_ieee_underflow 0
		.amdhsa_exception_fp_ieee_inexact 0
		.amdhsa_exception_int_div_zero 0
	.end_amdhsa_kernel
	.section	.text._Z22testAtomicSub_divValueIfEvPT_PbS1_,"axG",@progbits,_Z22testAtomicSub_divValueIfEvPT_PbS1_,comdat
.Lfunc_end5:
	.size	_Z22testAtomicSub_divValueIfEvPT_PbS1_, .Lfunc_end5-_Z22testAtomicSub_divValueIfEvPT_PbS1_
                                        ; -- End function
	.set _Z22testAtomicSub_divValueIfEvPT_PbS1_.num_vgpr, 4
	.set _Z22testAtomicSub_divValueIfEvPT_PbS1_.num_agpr, 0
	.set _Z22testAtomicSub_divValueIfEvPT_PbS1_.numbered_sgpr, 8
	.set _Z22testAtomicSub_divValueIfEvPT_PbS1_.num_named_barrier, 0
	.set _Z22testAtomicSub_divValueIfEvPT_PbS1_.private_seg_size, 0
	.set _Z22testAtomicSub_divValueIfEvPT_PbS1_.uses_vcc, 1
	.set _Z22testAtomicSub_divValueIfEvPT_PbS1_.uses_flat_scratch, 0
	.set _Z22testAtomicSub_divValueIfEvPT_PbS1_.has_dyn_sized_stack, 0
	.set _Z22testAtomicSub_divValueIfEvPT_PbS1_.has_recursion, 0
	.set _Z22testAtomicSub_divValueIfEvPT_PbS1_.has_indirect_call, 0
	.section	.AMDGPU.csdata,"",@progbits
; Kernel info:
; codeLenInByte = 256
; TotalNumSgprs: 12
; NumVgprs: 4
; ScratchSize: 0
; MemoryBound: 0
; FloatMode: 240
; IeeeMode: 1
; LDSByteSize: 0 bytes/workgroup (compile time only)
; SGPRBlocks: 1
; VGPRBlocks: 0
; NumSGPRsForWavesPerEU: 12
; NumVGPRsForWavesPerEU: 4
; Occupancy: 10
; WaveLimiterHint : 0
; COMPUTE_PGM_RSRC2:SCRATCH_EN: 0
; COMPUTE_PGM_RSRC2:USER_SGPR: 6
; COMPUTE_PGM_RSRC2:TRAP_HANDLER: 0
; COMPUTE_PGM_RSRC2:TGID_X_EN: 1
; COMPUTE_PGM_RSRC2:TGID_Y_EN: 0
; COMPUTE_PGM_RSRC2:TGID_Z_EN: 0
; COMPUTE_PGM_RSRC2:TIDIG_COMP_CNT: 0
	.section	.text._Z22testAtomicMax_divValueIfEvPT_PbS1_,"axG",@progbits,_Z22testAtomicMax_divValueIfEvPT_PbS1_,comdat
	.protected	_Z22testAtomicMax_divValueIfEvPT_PbS1_ ; -- Begin function _Z22testAtomicMax_divValueIfEvPT_PbS1_
	.globl	_Z22testAtomicMax_divValueIfEvPT_PbS1_
	.p2align	8
	.type	_Z22testAtomicMax_divValueIfEvPT_PbS1_,@function
_Z22testAtomicMax_divValueIfEvPT_PbS1_: ; @_Z22testAtomicMax_divValueIfEvPT_PbS1_
; %bb.0:
	s_load_dword s7, s[4:5], 0x24
	s_load_dwordx4 s[0:3], s[4:5], 0x0
	s_waitcnt lgkmcnt(0)
	s_and_b32 s7, s7, 0xffff
	s_mul_i32 s6, s6, s7
	v_add_u32_e32 v0, s6, v0
	global_load_ubyte v1, v0, s[2:3]
	s_waitcnt vmcnt(0)
	v_and_b32_e32 v1, 1, v1
	v_cmp_eq_u32_e32 vcc, 1, v1
	s_and_saveexec_b64 s[2:3], vcc
	s_cbranch_execz .LBB6_6
; %bb.1:
	s_load_dwordx2 s[4:5], s[4:5], 0x10
	v_mov_b32_e32 v1, 0
	v_lshlrev_b64 v[0:1], 2, v[0:1]
	s_mov_b64 s[2:3], exec
	s_waitcnt lgkmcnt(0)
	v_mov_b32_e32 v2, s5
	v_add_co_u32_e32 v0, vcc, s4, v0
	v_addc_co_u32_e32 v1, vcc, v2, v1, vcc
	global_load_dword v1, v[0:1], off
	v_mov_b32_e32 v0, 0x7fc00000
.LBB6_2:                                ; =>This Inner Loop Header: Depth=1
	s_ff1_i32_b64 s4, s[2:3]
	s_waitcnt vmcnt(0)
	v_readlane_b32 s6, v1, s4
	s_lshl_b64 s[4:5], 1, s4
	v_max_f32_e32 v0, v0, v0
	v_max_f32_e64 v2, s6, s6
	s_andn2_b64 s[2:3], s[2:3], s[4:5]
	s_cmp_lg_u64 s[2:3], 0
	v_max_f32_e32 v0, v0, v2
	s_cbranch_scc1 .LBB6_2
; %bb.3:
	v_mbcnt_lo_u32_b32 v1, exec_lo, 0
	v_mbcnt_hi_u32_b32 v1, exec_hi, v1
	v_cmp_eq_u32_e32 vcc, 0, v1
	s_and_saveexec_b64 s[2:3], vcc
	s_xor_b64 s[2:3], exec, s[2:3]
	s_cbranch_execz .LBB6_6
; %bb.4:
	s_load_dword s4, s[0:1], 0x8
	s_mov_b64 s[2:3], 0
	v_max_f32_e32 v2, v0, v0
	v_mov_b32_e32 v3, 0
	s_waitcnt lgkmcnt(0)
	v_mov_b32_e32 v1, s4
.LBB6_5:                                ; =>This Inner Loop Header: Depth=1
	v_max_f32_e32 v0, v1, v1
	v_max_f32_e32 v0, v0, v2
	global_atomic_cmpswap v0, v3, v[0:1], s[0:1] offset:8 glc
	s_waitcnt vmcnt(0)
	v_cmp_eq_u32_e32 vcc, v0, v1
	s_or_b64 s[2:3], vcc, s[2:3]
	v_mov_b32_e32 v1, v0
	s_andn2_b64 exec, exec, s[2:3]
	s_cbranch_execnz .LBB6_5
.LBB6_6:
	s_endpgm
	.section	.rodata,"a",@progbits
	.p2align	6, 0x0
	.amdhsa_kernel _Z22testAtomicMax_divValueIfEvPT_PbS1_
		.amdhsa_group_segment_fixed_size 0
		.amdhsa_private_segment_fixed_size 0
		.amdhsa_kernarg_size 280
		.amdhsa_user_sgpr_count 6
		.amdhsa_user_sgpr_private_segment_buffer 1
		.amdhsa_user_sgpr_dispatch_ptr 0
		.amdhsa_user_sgpr_queue_ptr 0
		.amdhsa_user_sgpr_kernarg_segment_ptr 1
		.amdhsa_user_sgpr_dispatch_id 0
		.amdhsa_user_sgpr_flat_scratch_init 0
		.amdhsa_user_sgpr_private_segment_size 0
		.amdhsa_uses_dynamic_stack 0
		.amdhsa_system_sgpr_private_segment_wavefront_offset 0
		.amdhsa_system_sgpr_workgroup_id_x 1
		.amdhsa_system_sgpr_workgroup_id_y 0
		.amdhsa_system_sgpr_workgroup_id_z 0
		.amdhsa_system_sgpr_workgroup_info 0
		.amdhsa_system_vgpr_workitem_id 0
		.amdhsa_next_free_vgpr 4
		.amdhsa_next_free_sgpr 8
		.amdhsa_reserve_vcc 1
		.amdhsa_reserve_flat_scratch 0
		.amdhsa_float_round_mode_32 0
		.amdhsa_float_round_mode_16_64 0
		.amdhsa_float_denorm_mode_32 3
		.amdhsa_float_denorm_mode_16_64 3
		.amdhsa_dx10_clamp 1
		.amdhsa_ieee_mode 1
		.amdhsa_fp16_overflow 0
		.amdhsa_exception_fp_ieee_invalid_op 0
		.amdhsa_exception_fp_denorm_src 0
		.amdhsa_exception_fp_ieee_div_zero 0
		.amdhsa_exception_fp_ieee_overflow 0
		.amdhsa_exception_fp_ieee_underflow 0
		.amdhsa_exception_fp_ieee_inexact 0
		.amdhsa_exception_int_div_zero 0
	.end_amdhsa_kernel
	.section	.text._Z22testAtomicMax_divValueIfEvPT_PbS1_,"axG",@progbits,_Z22testAtomicMax_divValueIfEvPT_PbS1_,comdat
.Lfunc_end6:
	.size	_Z22testAtomicMax_divValueIfEvPT_PbS1_, .Lfunc_end6-_Z22testAtomicMax_divValueIfEvPT_PbS1_
                                        ; -- End function
	.set _Z22testAtomicMax_divValueIfEvPT_PbS1_.num_vgpr, 4
	.set _Z22testAtomicMax_divValueIfEvPT_PbS1_.num_agpr, 0
	.set _Z22testAtomicMax_divValueIfEvPT_PbS1_.numbered_sgpr, 8
	.set _Z22testAtomicMax_divValueIfEvPT_PbS1_.num_named_barrier, 0
	.set _Z22testAtomicMax_divValueIfEvPT_PbS1_.private_seg_size, 0
	.set _Z22testAtomicMax_divValueIfEvPT_PbS1_.uses_vcc, 1
	.set _Z22testAtomicMax_divValueIfEvPT_PbS1_.uses_flat_scratch, 0
	.set _Z22testAtomicMax_divValueIfEvPT_PbS1_.has_dyn_sized_stack, 0
	.set _Z22testAtomicMax_divValueIfEvPT_PbS1_.has_recursion, 0
	.set _Z22testAtomicMax_divValueIfEvPT_PbS1_.has_indirect_call, 0
	.section	.AMDGPU.csdata,"",@progbits
; Kernel info:
; codeLenInByte = 272
; TotalNumSgprs: 12
; NumVgprs: 4
; ScratchSize: 0
; MemoryBound: 0
; FloatMode: 240
; IeeeMode: 1
; LDSByteSize: 0 bytes/workgroup (compile time only)
; SGPRBlocks: 1
; VGPRBlocks: 0
; NumSGPRsForWavesPerEU: 12
; NumVGPRsForWavesPerEU: 4
; Occupancy: 10
; WaveLimiterHint : 0
; COMPUTE_PGM_RSRC2:SCRATCH_EN: 0
; COMPUTE_PGM_RSRC2:USER_SGPR: 6
; COMPUTE_PGM_RSRC2:TRAP_HANDLER: 0
; COMPUTE_PGM_RSRC2:TGID_X_EN: 1
; COMPUTE_PGM_RSRC2:TGID_Y_EN: 0
; COMPUTE_PGM_RSRC2:TGID_Z_EN: 0
; COMPUTE_PGM_RSRC2:TIDIG_COMP_CNT: 0
	.section	.text._Z22testAtomicMin_divValueIfEvPT_PbS1_,"axG",@progbits,_Z22testAtomicMin_divValueIfEvPT_PbS1_,comdat
	.protected	_Z22testAtomicMin_divValueIfEvPT_PbS1_ ; -- Begin function _Z22testAtomicMin_divValueIfEvPT_PbS1_
	.globl	_Z22testAtomicMin_divValueIfEvPT_PbS1_
	.p2align	8
	.type	_Z22testAtomicMin_divValueIfEvPT_PbS1_,@function
_Z22testAtomicMin_divValueIfEvPT_PbS1_: ; @_Z22testAtomicMin_divValueIfEvPT_PbS1_
; %bb.0:
	s_load_dword s7, s[4:5], 0x24
	s_load_dwordx4 s[0:3], s[4:5], 0x0
	s_waitcnt lgkmcnt(0)
	s_and_b32 s7, s7, 0xffff
	s_mul_i32 s6, s6, s7
	v_add_u32_e32 v0, s6, v0
	global_load_ubyte v1, v0, s[2:3]
	s_waitcnt vmcnt(0)
	v_and_b32_e32 v1, 1, v1
	v_cmp_eq_u32_e32 vcc, 1, v1
	s_and_saveexec_b64 s[2:3], vcc
	s_cbranch_execz .LBB7_6
; %bb.1:
	s_load_dwordx2 s[4:5], s[4:5], 0x10
	v_mov_b32_e32 v1, 0
	v_lshlrev_b64 v[0:1], 2, v[0:1]
	s_mov_b64 s[2:3], exec
	s_waitcnt lgkmcnt(0)
	v_mov_b32_e32 v2, s5
	v_add_co_u32_e32 v0, vcc, s4, v0
	v_addc_co_u32_e32 v1, vcc, v2, v1, vcc
	global_load_dword v1, v[0:1], off
	v_mov_b32_e32 v0, 0x7fc00000
.LBB7_2:                                ; =>This Inner Loop Header: Depth=1
	s_ff1_i32_b64 s4, s[2:3]
	s_waitcnt vmcnt(0)
	v_readlane_b32 s6, v1, s4
	s_lshl_b64 s[4:5], 1, s4
	v_max_f32_e32 v0, v0, v0
	v_max_f32_e64 v2, s6, s6
	s_andn2_b64 s[2:3], s[2:3], s[4:5]
	s_cmp_lg_u64 s[2:3], 0
	v_min_f32_e32 v0, v0, v2
	s_cbranch_scc1 .LBB7_2
; %bb.3:
	v_mbcnt_lo_u32_b32 v1, exec_lo, 0
	v_mbcnt_hi_u32_b32 v1, exec_hi, v1
	v_cmp_eq_u32_e32 vcc, 0, v1
	s_and_saveexec_b64 s[2:3], vcc
	s_xor_b64 s[2:3], exec, s[2:3]
	s_cbranch_execz .LBB7_6
; %bb.4:
	s_load_dword s4, s[0:1], 0xc
	s_mov_b64 s[2:3], 0
	v_max_f32_e32 v2, v0, v0
	v_mov_b32_e32 v3, 0
	s_waitcnt lgkmcnt(0)
	v_mov_b32_e32 v1, s4
.LBB7_5:                                ; =>This Inner Loop Header: Depth=1
	v_max_f32_e32 v0, v1, v1
	v_min_f32_e32 v0, v0, v2
	global_atomic_cmpswap v0, v3, v[0:1], s[0:1] offset:12 glc
	s_waitcnt vmcnt(0)
	v_cmp_eq_u32_e32 vcc, v0, v1
	s_or_b64 s[2:3], vcc, s[2:3]
	v_mov_b32_e32 v1, v0
	s_andn2_b64 exec, exec, s[2:3]
	s_cbranch_execnz .LBB7_5
.LBB7_6:
	s_endpgm
	.section	.rodata,"a",@progbits
	.p2align	6, 0x0
	.amdhsa_kernel _Z22testAtomicMin_divValueIfEvPT_PbS1_
		.amdhsa_group_segment_fixed_size 0
		.amdhsa_private_segment_fixed_size 0
		.amdhsa_kernarg_size 280
		.amdhsa_user_sgpr_count 6
		.amdhsa_user_sgpr_private_segment_buffer 1
		.amdhsa_user_sgpr_dispatch_ptr 0
		.amdhsa_user_sgpr_queue_ptr 0
		.amdhsa_user_sgpr_kernarg_segment_ptr 1
		.amdhsa_user_sgpr_dispatch_id 0
		.amdhsa_user_sgpr_flat_scratch_init 0
		.amdhsa_user_sgpr_private_segment_size 0
		.amdhsa_uses_dynamic_stack 0
		.amdhsa_system_sgpr_private_segment_wavefront_offset 0
		.amdhsa_system_sgpr_workgroup_id_x 1
		.amdhsa_system_sgpr_workgroup_id_y 0
		.amdhsa_system_sgpr_workgroup_id_z 0
		.amdhsa_system_sgpr_workgroup_info 0
		.amdhsa_system_vgpr_workitem_id 0
		.amdhsa_next_free_vgpr 4
		.amdhsa_next_free_sgpr 8
		.amdhsa_reserve_vcc 1
		.amdhsa_reserve_flat_scratch 0
		.amdhsa_float_round_mode_32 0
		.amdhsa_float_round_mode_16_64 0
		.amdhsa_float_denorm_mode_32 3
		.amdhsa_float_denorm_mode_16_64 3
		.amdhsa_dx10_clamp 1
		.amdhsa_ieee_mode 1
		.amdhsa_fp16_overflow 0
		.amdhsa_exception_fp_ieee_invalid_op 0
		.amdhsa_exception_fp_denorm_src 0
		.amdhsa_exception_fp_ieee_div_zero 0
		.amdhsa_exception_fp_ieee_overflow 0
		.amdhsa_exception_fp_ieee_underflow 0
		.amdhsa_exception_fp_ieee_inexact 0
		.amdhsa_exception_int_div_zero 0
	.end_amdhsa_kernel
	.section	.text._Z22testAtomicMin_divValueIfEvPT_PbS1_,"axG",@progbits,_Z22testAtomicMin_divValueIfEvPT_PbS1_,comdat
.Lfunc_end7:
	.size	_Z22testAtomicMin_divValueIfEvPT_PbS1_, .Lfunc_end7-_Z22testAtomicMin_divValueIfEvPT_PbS1_
                                        ; -- End function
	.set _Z22testAtomicMin_divValueIfEvPT_PbS1_.num_vgpr, 4
	.set _Z22testAtomicMin_divValueIfEvPT_PbS1_.num_agpr, 0
	.set _Z22testAtomicMin_divValueIfEvPT_PbS1_.numbered_sgpr, 8
	.set _Z22testAtomicMin_divValueIfEvPT_PbS1_.num_named_barrier, 0
	.set _Z22testAtomicMin_divValueIfEvPT_PbS1_.private_seg_size, 0
	.set _Z22testAtomicMin_divValueIfEvPT_PbS1_.uses_vcc, 1
	.set _Z22testAtomicMin_divValueIfEvPT_PbS1_.uses_flat_scratch, 0
	.set _Z22testAtomicMin_divValueIfEvPT_PbS1_.has_dyn_sized_stack, 0
	.set _Z22testAtomicMin_divValueIfEvPT_PbS1_.has_recursion, 0
	.set _Z22testAtomicMin_divValueIfEvPT_PbS1_.has_indirect_call, 0
	.section	.AMDGPU.csdata,"",@progbits
; Kernel info:
; codeLenInByte = 272
; TotalNumSgprs: 12
; NumVgprs: 4
; ScratchSize: 0
; MemoryBound: 0
; FloatMode: 240
; IeeeMode: 1
; LDSByteSize: 0 bytes/workgroup (compile time only)
; SGPRBlocks: 1
; VGPRBlocks: 0
; NumSGPRsForWavesPerEU: 12
; NumVGPRsForWavesPerEU: 4
; Occupancy: 10
; WaveLimiterHint : 0
; COMPUTE_PGM_RSRC2:SCRATCH_EN: 0
; COMPUTE_PGM_RSRC2:USER_SGPR: 6
; COMPUTE_PGM_RSRC2:TRAP_HANDLER: 0
; COMPUTE_PGM_RSRC2:TGID_X_EN: 1
; COMPUTE_PGM_RSRC2:TGID_Y_EN: 0
; COMPUTE_PGM_RSRC2:TGID_Z_EN: 0
; COMPUTE_PGM_RSRC2:TIDIG_COMP_CNT: 0
	.section	.text._Z22testAtomicAdd_uniValueIiEvPT_Pb,"axG",@progbits,_Z22testAtomicAdd_uniValueIiEvPT_Pb,comdat
	.protected	_Z22testAtomicAdd_uniValueIiEvPT_Pb ; -- Begin function _Z22testAtomicAdd_uniValueIiEvPT_Pb
	.globl	_Z22testAtomicAdd_uniValueIiEvPT_Pb
	.p2align	8
	.type	_Z22testAtomicAdd_uniValueIiEvPT_Pb,@function
_Z22testAtomicAdd_uniValueIiEvPT_Pb:    ; @_Z22testAtomicAdd_uniValueIiEvPT_Pb
; %bb.0:
	s_load_dword s7, s[4:5], 0x1c
	s_load_dwordx4 s[0:3], s[4:5], 0x0
	s_waitcnt lgkmcnt(0)
	s_and_b32 s4, s7, 0xffff
	s_mul_i32 s6, s6, s4
	v_add_u32_e32 v0, s6, v0
	global_load_ubyte v0, v0, s[2:3]
	s_waitcnt vmcnt(0)
	v_and_b32_e32 v0, 1, v0
	v_cmp_eq_u32_e32 vcc, 1, v0
	s_and_saveexec_b64 s[2:3], vcc
	s_cbranch_execz .LBB8_3
; %bb.1:
	s_mov_b64 s[2:3], exec
	v_mbcnt_lo_u32_b32 v0, s2, 0
	v_mbcnt_hi_u32_b32 v0, s3, v0
	v_cmp_eq_u32_e32 vcc, 0, v0
	s_and_b64 s[4:5], exec, vcc
	s_mov_b64 exec, s[4:5]
	s_cbranch_execz .LBB8_3
; %bb.2:
	s_bcnt1_i32_b64 s2, s[2:3]
	s_mul_i32 s2, s2, 10
	v_mov_b32_e32 v0, 0
	v_mov_b32_e32 v1, s2
	global_atomic_add v0, v1, s[0:1]
.LBB8_3:
	s_endpgm
	.section	.rodata,"a",@progbits
	.p2align	6, 0x0
	.amdhsa_kernel _Z22testAtomicAdd_uniValueIiEvPT_Pb
		.amdhsa_group_segment_fixed_size 0
		.amdhsa_private_segment_fixed_size 0
		.amdhsa_kernarg_size 272
		.amdhsa_user_sgpr_count 6
		.amdhsa_user_sgpr_private_segment_buffer 1
		.amdhsa_user_sgpr_dispatch_ptr 0
		.amdhsa_user_sgpr_queue_ptr 0
		.amdhsa_user_sgpr_kernarg_segment_ptr 1
		.amdhsa_user_sgpr_dispatch_id 0
		.amdhsa_user_sgpr_flat_scratch_init 0
		.amdhsa_user_sgpr_private_segment_size 0
		.amdhsa_uses_dynamic_stack 0
		.amdhsa_system_sgpr_private_segment_wavefront_offset 0
		.amdhsa_system_sgpr_workgroup_id_x 1
		.amdhsa_system_sgpr_workgroup_id_y 0
		.amdhsa_system_sgpr_workgroup_id_z 0
		.amdhsa_system_sgpr_workgroup_info 0
		.amdhsa_system_vgpr_workitem_id 0
		.amdhsa_next_free_vgpr 2
		.amdhsa_next_free_sgpr 8
		.amdhsa_reserve_vcc 1
		.amdhsa_reserve_flat_scratch 0
		.amdhsa_float_round_mode_32 0
		.amdhsa_float_round_mode_16_64 0
		.amdhsa_float_denorm_mode_32 3
		.amdhsa_float_denorm_mode_16_64 3
		.amdhsa_dx10_clamp 1
		.amdhsa_ieee_mode 1
		.amdhsa_fp16_overflow 0
		.amdhsa_exception_fp_ieee_invalid_op 0
		.amdhsa_exception_fp_denorm_src 0
		.amdhsa_exception_fp_ieee_div_zero 0
		.amdhsa_exception_fp_ieee_overflow 0
		.amdhsa_exception_fp_ieee_underflow 0
		.amdhsa_exception_fp_ieee_inexact 0
		.amdhsa_exception_int_div_zero 0
	.end_amdhsa_kernel
	.section	.text._Z22testAtomicAdd_uniValueIiEvPT_Pb,"axG",@progbits,_Z22testAtomicAdd_uniValueIiEvPT_Pb,comdat
.Lfunc_end8:
	.size	_Z22testAtomicAdd_uniValueIiEvPT_Pb, .Lfunc_end8-_Z22testAtomicAdd_uniValueIiEvPT_Pb
                                        ; -- End function
	.set _Z22testAtomicAdd_uniValueIiEvPT_Pb.num_vgpr, 2
	.set _Z22testAtomicAdd_uniValueIiEvPT_Pb.num_agpr, 0
	.set _Z22testAtomicAdd_uniValueIiEvPT_Pb.numbered_sgpr, 8
	.set _Z22testAtomicAdd_uniValueIiEvPT_Pb.num_named_barrier, 0
	.set _Z22testAtomicAdd_uniValueIiEvPT_Pb.private_seg_size, 0
	.set _Z22testAtomicAdd_uniValueIiEvPT_Pb.uses_vcc, 1
	.set _Z22testAtomicAdd_uniValueIiEvPT_Pb.uses_flat_scratch, 0
	.set _Z22testAtomicAdd_uniValueIiEvPT_Pb.has_dyn_sized_stack, 0
	.set _Z22testAtomicAdd_uniValueIiEvPT_Pb.has_recursion, 0
	.set _Z22testAtomicAdd_uniValueIiEvPT_Pb.has_indirect_call, 0
	.section	.AMDGPU.csdata,"",@progbits
; Kernel info:
; codeLenInByte = 128
; TotalNumSgprs: 12
; NumVgprs: 2
; ScratchSize: 0
; MemoryBound: 0
; FloatMode: 240
; IeeeMode: 1
; LDSByteSize: 0 bytes/workgroup (compile time only)
; SGPRBlocks: 1
; VGPRBlocks: 0
; NumSGPRsForWavesPerEU: 12
; NumVGPRsForWavesPerEU: 2
; Occupancy: 10
; WaveLimiterHint : 0
; COMPUTE_PGM_RSRC2:SCRATCH_EN: 0
; COMPUTE_PGM_RSRC2:USER_SGPR: 6
; COMPUTE_PGM_RSRC2:TRAP_HANDLER: 0
; COMPUTE_PGM_RSRC2:TGID_X_EN: 1
; COMPUTE_PGM_RSRC2:TGID_Y_EN: 0
; COMPUTE_PGM_RSRC2:TGID_Z_EN: 0
; COMPUTE_PGM_RSRC2:TIDIG_COMP_CNT: 0
	.section	.text._Z22testAtomicSub_uniValueIiEvPT_Pb,"axG",@progbits,_Z22testAtomicSub_uniValueIiEvPT_Pb,comdat
	.protected	_Z22testAtomicSub_uniValueIiEvPT_Pb ; -- Begin function _Z22testAtomicSub_uniValueIiEvPT_Pb
	.globl	_Z22testAtomicSub_uniValueIiEvPT_Pb
	.p2align	8
	.type	_Z22testAtomicSub_uniValueIiEvPT_Pb,@function
_Z22testAtomicSub_uniValueIiEvPT_Pb:    ; @_Z22testAtomicSub_uniValueIiEvPT_Pb
; %bb.0:
	s_load_dword s7, s[4:5], 0x1c
	s_load_dwordx4 s[0:3], s[4:5], 0x0
	s_waitcnt lgkmcnt(0)
	s_and_b32 s4, s7, 0xffff
	s_mul_i32 s6, s6, s4
	v_add_u32_e32 v0, s6, v0
	global_load_ubyte v0, v0, s[2:3]
	s_waitcnt vmcnt(0)
	v_and_b32_e32 v0, 1, v0
	v_cmp_eq_u32_e32 vcc, 1, v0
	s_and_saveexec_b64 s[2:3], vcc
	s_cbranch_execz .LBB9_3
; %bb.1:
	s_mov_b64 s[2:3], exec
	v_mbcnt_lo_u32_b32 v0, s2, 0
	v_mbcnt_hi_u32_b32 v0, s3, v0
	v_cmp_eq_u32_e32 vcc, 0, v0
	s_and_b64 s[4:5], exec, vcc
	s_mov_b64 exec, s[4:5]
	s_cbranch_execz .LBB9_3
; %bb.2:
	s_bcnt1_i32_b64 s2, s[2:3]
	s_mul_i32 s2, s2, -10
	v_mov_b32_e32 v0, 0
	v_mov_b32_e32 v1, s2
	global_atomic_add v0, v1, s[0:1] offset:4
.LBB9_3:
	s_endpgm
	.section	.rodata,"a",@progbits
	.p2align	6, 0x0
	.amdhsa_kernel _Z22testAtomicSub_uniValueIiEvPT_Pb
		.amdhsa_group_segment_fixed_size 0
		.amdhsa_private_segment_fixed_size 0
		.amdhsa_kernarg_size 272
		.amdhsa_user_sgpr_count 6
		.amdhsa_user_sgpr_private_segment_buffer 1
		.amdhsa_user_sgpr_dispatch_ptr 0
		.amdhsa_user_sgpr_queue_ptr 0
		.amdhsa_user_sgpr_kernarg_segment_ptr 1
		.amdhsa_user_sgpr_dispatch_id 0
		.amdhsa_user_sgpr_flat_scratch_init 0
		.amdhsa_user_sgpr_private_segment_size 0
		.amdhsa_uses_dynamic_stack 0
		.amdhsa_system_sgpr_private_segment_wavefront_offset 0
		.amdhsa_system_sgpr_workgroup_id_x 1
		.amdhsa_system_sgpr_workgroup_id_y 0
		.amdhsa_system_sgpr_workgroup_id_z 0
		.amdhsa_system_sgpr_workgroup_info 0
		.amdhsa_system_vgpr_workitem_id 0
		.amdhsa_next_free_vgpr 2
		.amdhsa_next_free_sgpr 8
		.amdhsa_reserve_vcc 1
		.amdhsa_reserve_flat_scratch 0
		.amdhsa_float_round_mode_32 0
		.amdhsa_float_round_mode_16_64 0
		.amdhsa_float_denorm_mode_32 3
		.amdhsa_float_denorm_mode_16_64 3
		.amdhsa_dx10_clamp 1
		.amdhsa_ieee_mode 1
		.amdhsa_fp16_overflow 0
		.amdhsa_exception_fp_ieee_invalid_op 0
		.amdhsa_exception_fp_denorm_src 0
		.amdhsa_exception_fp_ieee_div_zero 0
		.amdhsa_exception_fp_ieee_overflow 0
		.amdhsa_exception_fp_ieee_underflow 0
		.amdhsa_exception_fp_ieee_inexact 0
		.amdhsa_exception_int_div_zero 0
	.end_amdhsa_kernel
	.section	.text._Z22testAtomicSub_uniValueIiEvPT_Pb,"axG",@progbits,_Z22testAtomicSub_uniValueIiEvPT_Pb,comdat
.Lfunc_end9:
	.size	_Z22testAtomicSub_uniValueIiEvPT_Pb, .Lfunc_end9-_Z22testAtomicSub_uniValueIiEvPT_Pb
                                        ; -- End function
	.set _Z22testAtomicSub_uniValueIiEvPT_Pb.num_vgpr, 2
	.set _Z22testAtomicSub_uniValueIiEvPT_Pb.num_agpr, 0
	.set _Z22testAtomicSub_uniValueIiEvPT_Pb.numbered_sgpr, 8
	.set _Z22testAtomicSub_uniValueIiEvPT_Pb.num_named_barrier, 0
	.set _Z22testAtomicSub_uniValueIiEvPT_Pb.private_seg_size, 0
	.set _Z22testAtomicSub_uniValueIiEvPT_Pb.uses_vcc, 1
	.set _Z22testAtomicSub_uniValueIiEvPT_Pb.uses_flat_scratch, 0
	.set _Z22testAtomicSub_uniValueIiEvPT_Pb.has_dyn_sized_stack, 0
	.set _Z22testAtomicSub_uniValueIiEvPT_Pb.has_recursion, 0
	.set _Z22testAtomicSub_uniValueIiEvPT_Pb.has_indirect_call, 0
	.section	.AMDGPU.csdata,"",@progbits
; Kernel info:
; codeLenInByte = 128
; TotalNumSgprs: 12
; NumVgprs: 2
; ScratchSize: 0
; MemoryBound: 0
; FloatMode: 240
; IeeeMode: 1
; LDSByteSize: 0 bytes/workgroup (compile time only)
; SGPRBlocks: 1
; VGPRBlocks: 0
; NumSGPRsForWavesPerEU: 12
; NumVGPRsForWavesPerEU: 2
; Occupancy: 10
; WaveLimiterHint : 0
; COMPUTE_PGM_RSRC2:SCRATCH_EN: 0
; COMPUTE_PGM_RSRC2:USER_SGPR: 6
; COMPUTE_PGM_RSRC2:TRAP_HANDLER: 0
; COMPUTE_PGM_RSRC2:TGID_X_EN: 1
; COMPUTE_PGM_RSRC2:TGID_Y_EN: 0
; COMPUTE_PGM_RSRC2:TGID_Z_EN: 0
; COMPUTE_PGM_RSRC2:TIDIG_COMP_CNT: 0
	.section	.text._Z22testAtomicMax_uniValueIiEvPT_Pb,"axG",@progbits,_Z22testAtomicMax_uniValueIiEvPT_Pb,comdat
	.protected	_Z22testAtomicMax_uniValueIiEvPT_Pb ; -- Begin function _Z22testAtomicMax_uniValueIiEvPT_Pb
	.globl	_Z22testAtomicMax_uniValueIiEvPT_Pb
	.p2align	8
	.type	_Z22testAtomicMax_uniValueIiEvPT_Pb,@function
_Z22testAtomicMax_uniValueIiEvPT_Pb:    ; @_Z22testAtomicMax_uniValueIiEvPT_Pb
; %bb.0:
	s_load_dword s7, s[4:5], 0x1c
	s_load_dwordx4 s[0:3], s[4:5], 0x0
	s_waitcnt lgkmcnt(0)
	s_and_b32 s4, s7, 0xffff
	s_mul_i32 s6, s6, s4
	v_add_u32_e32 v0, s6, v0
	global_load_ubyte v0, v0, s[2:3]
	s_waitcnt vmcnt(0)
	v_and_b32_e32 v0, 1, v0
	v_cmp_eq_u32_e32 vcc, 1, v0
	s_and_saveexec_b64 s[2:3], vcc
	s_cbranch_execz .LBB10_3
; %bb.1:
	v_mbcnt_lo_u32_b32 v0, exec_lo, 0
	v_mbcnt_hi_u32_b32 v0, exec_hi, v0
	v_cmp_eq_u32_e32 vcc, 0, v0
	s_and_b64 exec, exec, vcc
	s_cbranch_execz .LBB10_3
; %bb.2:
	v_mov_b32_e32 v0, 0
	v_mov_b32_e32 v1, 10
	global_atomic_smax v0, v1, s[0:1] offset:8
.LBB10_3:
	s_endpgm
	.section	.rodata,"a",@progbits
	.p2align	6, 0x0
	.amdhsa_kernel _Z22testAtomicMax_uniValueIiEvPT_Pb
		.amdhsa_group_segment_fixed_size 0
		.amdhsa_private_segment_fixed_size 0
		.amdhsa_kernarg_size 272
		.amdhsa_user_sgpr_count 6
		.amdhsa_user_sgpr_private_segment_buffer 1
		.amdhsa_user_sgpr_dispatch_ptr 0
		.amdhsa_user_sgpr_queue_ptr 0
		.amdhsa_user_sgpr_kernarg_segment_ptr 1
		.amdhsa_user_sgpr_dispatch_id 0
		.amdhsa_user_sgpr_flat_scratch_init 0
		.amdhsa_user_sgpr_private_segment_size 0
		.amdhsa_uses_dynamic_stack 0
		.amdhsa_system_sgpr_private_segment_wavefront_offset 0
		.amdhsa_system_sgpr_workgroup_id_x 1
		.amdhsa_system_sgpr_workgroup_id_y 0
		.amdhsa_system_sgpr_workgroup_id_z 0
		.amdhsa_system_sgpr_workgroup_info 0
		.amdhsa_system_vgpr_workitem_id 0
		.amdhsa_next_free_vgpr 2
		.amdhsa_next_free_sgpr 8
		.amdhsa_reserve_vcc 1
		.amdhsa_reserve_flat_scratch 0
		.amdhsa_float_round_mode_32 0
		.amdhsa_float_round_mode_16_64 0
		.amdhsa_float_denorm_mode_32 3
		.amdhsa_float_denorm_mode_16_64 3
		.amdhsa_dx10_clamp 1
		.amdhsa_ieee_mode 1
		.amdhsa_fp16_overflow 0
		.amdhsa_exception_fp_ieee_invalid_op 0
		.amdhsa_exception_fp_denorm_src 0
		.amdhsa_exception_fp_ieee_div_zero 0
		.amdhsa_exception_fp_ieee_overflow 0
		.amdhsa_exception_fp_ieee_underflow 0
		.amdhsa_exception_fp_ieee_inexact 0
		.amdhsa_exception_int_div_zero 0
	.end_amdhsa_kernel
	.section	.text._Z22testAtomicMax_uniValueIiEvPT_Pb,"axG",@progbits,_Z22testAtomicMax_uniValueIiEvPT_Pb,comdat
.Lfunc_end10:
	.size	_Z22testAtomicMax_uniValueIiEvPT_Pb, .Lfunc_end10-_Z22testAtomicMax_uniValueIiEvPT_Pb
                                        ; -- End function
	.set _Z22testAtomicMax_uniValueIiEvPT_Pb.num_vgpr, 2
	.set _Z22testAtomicMax_uniValueIiEvPT_Pb.num_agpr, 0
	.set _Z22testAtomicMax_uniValueIiEvPT_Pb.numbered_sgpr, 8
	.set _Z22testAtomicMax_uniValueIiEvPT_Pb.num_named_barrier, 0
	.set _Z22testAtomicMax_uniValueIiEvPT_Pb.private_seg_size, 0
	.set _Z22testAtomicMax_uniValueIiEvPT_Pb.uses_vcc, 1
	.set _Z22testAtomicMax_uniValueIiEvPT_Pb.uses_flat_scratch, 0
	.set _Z22testAtomicMax_uniValueIiEvPT_Pb.has_dyn_sized_stack, 0
	.set _Z22testAtomicMax_uniValueIiEvPT_Pb.has_recursion, 0
	.set _Z22testAtomicMax_uniValueIiEvPT_Pb.has_indirect_call, 0
	.section	.AMDGPU.csdata,"",@progbits
; Kernel info:
; codeLenInByte = 112
; TotalNumSgprs: 12
; NumVgprs: 2
; ScratchSize: 0
; MemoryBound: 0
; FloatMode: 240
; IeeeMode: 1
; LDSByteSize: 0 bytes/workgroup (compile time only)
; SGPRBlocks: 1
; VGPRBlocks: 0
; NumSGPRsForWavesPerEU: 12
; NumVGPRsForWavesPerEU: 2
; Occupancy: 10
; WaveLimiterHint : 0
; COMPUTE_PGM_RSRC2:SCRATCH_EN: 0
; COMPUTE_PGM_RSRC2:USER_SGPR: 6
; COMPUTE_PGM_RSRC2:TRAP_HANDLER: 0
; COMPUTE_PGM_RSRC2:TGID_X_EN: 1
; COMPUTE_PGM_RSRC2:TGID_Y_EN: 0
; COMPUTE_PGM_RSRC2:TGID_Z_EN: 0
; COMPUTE_PGM_RSRC2:TIDIG_COMP_CNT: 0
	.section	.text._Z22testAtomicMin_uniValueIiEvPT_Pb,"axG",@progbits,_Z22testAtomicMin_uniValueIiEvPT_Pb,comdat
	.protected	_Z22testAtomicMin_uniValueIiEvPT_Pb ; -- Begin function _Z22testAtomicMin_uniValueIiEvPT_Pb
	.globl	_Z22testAtomicMin_uniValueIiEvPT_Pb
	.p2align	8
	.type	_Z22testAtomicMin_uniValueIiEvPT_Pb,@function
_Z22testAtomicMin_uniValueIiEvPT_Pb:    ; @_Z22testAtomicMin_uniValueIiEvPT_Pb
; %bb.0:
	s_load_dword s7, s[4:5], 0x1c
	s_load_dwordx4 s[0:3], s[4:5], 0x0
	s_waitcnt lgkmcnt(0)
	s_and_b32 s4, s7, 0xffff
	s_mul_i32 s6, s6, s4
	v_add_u32_e32 v0, s6, v0
	global_load_ubyte v0, v0, s[2:3]
	s_waitcnt vmcnt(0)
	v_and_b32_e32 v0, 1, v0
	v_cmp_eq_u32_e32 vcc, 1, v0
	s_and_saveexec_b64 s[2:3], vcc
	s_cbranch_execz .LBB11_3
; %bb.1:
	v_mbcnt_lo_u32_b32 v0, exec_lo, 0
	v_mbcnt_hi_u32_b32 v0, exec_hi, v0
	v_cmp_eq_u32_e32 vcc, 0, v0
	s_and_b64 exec, exec, vcc
	s_cbranch_execz .LBB11_3
; %bb.2:
	v_mov_b32_e32 v0, 0
	v_mov_b32_e32 v1, 10
	global_atomic_smin v0, v1, s[0:1] offset:12
.LBB11_3:
	s_endpgm
	.section	.rodata,"a",@progbits
	.p2align	6, 0x0
	.amdhsa_kernel _Z22testAtomicMin_uniValueIiEvPT_Pb
		.amdhsa_group_segment_fixed_size 0
		.amdhsa_private_segment_fixed_size 0
		.amdhsa_kernarg_size 272
		.amdhsa_user_sgpr_count 6
		.amdhsa_user_sgpr_private_segment_buffer 1
		.amdhsa_user_sgpr_dispatch_ptr 0
		.amdhsa_user_sgpr_queue_ptr 0
		.amdhsa_user_sgpr_kernarg_segment_ptr 1
		.amdhsa_user_sgpr_dispatch_id 0
		.amdhsa_user_sgpr_flat_scratch_init 0
		.amdhsa_user_sgpr_private_segment_size 0
		.amdhsa_uses_dynamic_stack 0
		.amdhsa_system_sgpr_private_segment_wavefront_offset 0
		.amdhsa_system_sgpr_workgroup_id_x 1
		.amdhsa_system_sgpr_workgroup_id_y 0
		.amdhsa_system_sgpr_workgroup_id_z 0
		.amdhsa_system_sgpr_workgroup_info 0
		.amdhsa_system_vgpr_workitem_id 0
		.amdhsa_next_free_vgpr 2
		.amdhsa_next_free_sgpr 8
		.amdhsa_reserve_vcc 1
		.amdhsa_reserve_flat_scratch 0
		.amdhsa_float_round_mode_32 0
		.amdhsa_float_round_mode_16_64 0
		.amdhsa_float_denorm_mode_32 3
		.amdhsa_float_denorm_mode_16_64 3
		.amdhsa_dx10_clamp 1
		.amdhsa_ieee_mode 1
		.amdhsa_fp16_overflow 0
		.amdhsa_exception_fp_ieee_invalid_op 0
		.amdhsa_exception_fp_denorm_src 0
		.amdhsa_exception_fp_ieee_div_zero 0
		.amdhsa_exception_fp_ieee_overflow 0
		.amdhsa_exception_fp_ieee_underflow 0
		.amdhsa_exception_fp_ieee_inexact 0
		.amdhsa_exception_int_div_zero 0
	.end_amdhsa_kernel
	.section	.text._Z22testAtomicMin_uniValueIiEvPT_Pb,"axG",@progbits,_Z22testAtomicMin_uniValueIiEvPT_Pb,comdat
.Lfunc_end11:
	.size	_Z22testAtomicMin_uniValueIiEvPT_Pb, .Lfunc_end11-_Z22testAtomicMin_uniValueIiEvPT_Pb
                                        ; -- End function
	.set _Z22testAtomicMin_uniValueIiEvPT_Pb.num_vgpr, 2
	.set _Z22testAtomicMin_uniValueIiEvPT_Pb.num_agpr, 0
	.set _Z22testAtomicMin_uniValueIiEvPT_Pb.numbered_sgpr, 8
	.set _Z22testAtomicMin_uniValueIiEvPT_Pb.num_named_barrier, 0
	.set _Z22testAtomicMin_uniValueIiEvPT_Pb.private_seg_size, 0
	.set _Z22testAtomicMin_uniValueIiEvPT_Pb.uses_vcc, 1
	.set _Z22testAtomicMin_uniValueIiEvPT_Pb.uses_flat_scratch, 0
	.set _Z22testAtomicMin_uniValueIiEvPT_Pb.has_dyn_sized_stack, 0
	.set _Z22testAtomicMin_uniValueIiEvPT_Pb.has_recursion, 0
	.set _Z22testAtomicMin_uniValueIiEvPT_Pb.has_indirect_call, 0
	.section	.AMDGPU.csdata,"",@progbits
; Kernel info:
; codeLenInByte = 112
; TotalNumSgprs: 12
; NumVgprs: 2
; ScratchSize: 0
; MemoryBound: 0
; FloatMode: 240
; IeeeMode: 1
; LDSByteSize: 0 bytes/workgroup (compile time only)
; SGPRBlocks: 1
; VGPRBlocks: 0
; NumSGPRsForWavesPerEU: 12
; NumVGPRsForWavesPerEU: 2
; Occupancy: 10
; WaveLimiterHint : 0
; COMPUTE_PGM_RSRC2:SCRATCH_EN: 0
; COMPUTE_PGM_RSRC2:USER_SGPR: 6
; COMPUTE_PGM_RSRC2:TRAP_HANDLER: 0
; COMPUTE_PGM_RSRC2:TGID_X_EN: 1
; COMPUTE_PGM_RSRC2:TGID_Y_EN: 0
; COMPUTE_PGM_RSRC2:TGID_Z_EN: 0
; COMPUTE_PGM_RSRC2:TIDIG_COMP_CNT: 0
	.section	.text._Z22testAtomicAnd_uniValueIiEvPT_Pb,"axG",@progbits,_Z22testAtomicAnd_uniValueIiEvPT_Pb,comdat
	.protected	_Z22testAtomicAnd_uniValueIiEvPT_Pb ; -- Begin function _Z22testAtomicAnd_uniValueIiEvPT_Pb
	.globl	_Z22testAtomicAnd_uniValueIiEvPT_Pb
	.p2align	8
	.type	_Z22testAtomicAnd_uniValueIiEvPT_Pb,@function
_Z22testAtomicAnd_uniValueIiEvPT_Pb:    ; @_Z22testAtomicAnd_uniValueIiEvPT_Pb
; %bb.0:
	s_load_dword s7, s[4:5], 0x1c
	s_load_dwordx4 s[0:3], s[4:5], 0x0
	s_waitcnt lgkmcnt(0)
	s_and_b32 s4, s7, 0xffff
	s_mul_i32 s6, s6, s4
	v_add_u32_e32 v0, s6, v0
	global_load_ubyte v0, v0, s[2:3]
	s_waitcnt vmcnt(0)
	v_and_b32_e32 v0, 1, v0
	v_cmp_eq_u32_e32 vcc, 1, v0
	s_and_saveexec_b64 s[2:3], vcc
	s_cbranch_execz .LBB12_3
; %bb.1:
	v_mbcnt_lo_u32_b32 v0, exec_lo, 0
	v_mbcnt_hi_u32_b32 v0, exec_hi, v0
	v_cmp_eq_u32_e32 vcc, 0, v0
	s_and_b64 exec, exec, vcc
	s_cbranch_execz .LBB12_3
; %bb.2:
	v_mov_b32_e32 v0, 0
	v_mov_b32_e32 v1, 10
	global_atomic_and v0, v1, s[0:1] offset:16
.LBB12_3:
	s_endpgm
	.section	.rodata,"a",@progbits
	.p2align	6, 0x0
	.amdhsa_kernel _Z22testAtomicAnd_uniValueIiEvPT_Pb
		.amdhsa_group_segment_fixed_size 0
		.amdhsa_private_segment_fixed_size 0
		.amdhsa_kernarg_size 272
		.amdhsa_user_sgpr_count 6
		.amdhsa_user_sgpr_private_segment_buffer 1
		.amdhsa_user_sgpr_dispatch_ptr 0
		.amdhsa_user_sgpr_queue_ptr 0
		.amdhsa_user_sgpr_kernarg_segment_ptr 1
		.amdhsa_user_sgpr_dispatch_id 0
		.amdhsa_user_sgpr_flat_scratch_init 0
		.amdhsa_user_sgpr_private_segment_size 0
		.amdhsa_uses_dynamic_stack 0
		.amdhsa_system_sgpr_private_segment_wavefront_offset 0
		.amdhsa_system_sgpr_workgroup_id_x 1
		.amdhsa_system_sgpr_workgroup_id_y 0
		.amdhsa_system_sgpr_workgroup_id_z 0
		.amdhsa_system_sgpr_workgroup_info 0
		.amdhsa_system_vgpr_workitem_id 0
		.amdhsa_next_free_vgpr 2
		.amdhsa_next_free_sgpr 8
		.amdhsa_reserve_vcc 1
		.amdhsa_reserve_flat_scratch 0
		.amdhsa_float_round_mode_32 0
		.amdhsa_float_round_mode_16_64 0
		.amdhsa_float_denorm_mode_32 3
		.amdhsa_float_denorm_mode_16_64 3
		.amdhsa_dx10_clamp 1
		.amdhsa_ieee_mode 1
		.amdhsa_fp16_overflow 0
		.amdhsa_exception_fp_ieee_invalid_op 0
		.amdhsa_exception_fp_denorm_src 0
		.amdhsa_exception_fp_ieee_div_zero 0
		.amdhsa_exception_fp_ieee_overflow 0
		.amdhsa_exception_fp_ieee_underflow 0
		.amdhsa_exception_fp_ieee_inexact 0
		.amdhsa_exception_int_div_zero 0
	.end_amdhsa_kernel
	.section	.text._Z22testAtomicAnd_uniValueIiEvPT_Pb,"axG",@progbits,_Z22testAtomicAnd_uniValueIiEvPT_Pb,comdat
.Lfunc_end12:
	.size	_Z22testAtomicAnd_uniValueIiEvPT_Pb, .Lfunc_end12-_Z22testAtomicAnd_uniValueIiEvPT_Pb
                                        ; -- End function
	.set _Z22testAtomicAnd_uniValueIiEvPT_Pb.num_vgpr, 2
	.set _Z22testAtomicAnd_uniValueIiEvPT_Pb.num_agpr, 0
	.set _Z22testAtomicAnd_uniValueIiEvPT_Pb.numbered_sgpr, 8
	.set _Z22testAtomicAnd_uniValueIiEvPT_Pb.num_named_barrier, 0
	.set _Z22testAtomicAnd_uniValueIiEvPT_Pb.private_seg_size, 0
	.set _Z22testAtomicAnd_uniValueIiEvPT_Pb.uses_vcc, 1
	.set _Z22testAtomicAnd_uniValueIiEvPT_Pb.uses_flat_scratch, 0
	.set _Z22testAtomicAnd_uniValueIiEvPT_Pb.has_dyn_sized_stack, 0
	.set _Z22testAtomicAnd_uniValueIiEvPT_Pb.has_recursion, 0
	.set _Z22testAtomicAnd_uniValueIiEvPT_Pb.has_indirect_call, 0
	.section	.AMDGPU.csdata,"",@progbits
; Kernel info:
; codeLenInByte = 112
; TotalNumSgprs: 12
; NumVgprs: 2
; ScratchSize: 0
; MemoryBound: 0
; FloatMode: 240
; IeeeMode: 1
; LDSByteSize: 0 bytes/workgroup (compile time only)
; SGPRBlocks: 1
; VGPRBlocks: 0
; NumSGPRsForWavesPerEU: 12
; NumVGPRsForWavesPerEU: 2
; Occupancy: 10
; WaveLimiterHint : 0
; COMPUTE_PGM_RSRC2:SCRATCH_EN: 0
; COMPUTE_PGM_RSRC2:USER_SGPR: 6
; COMPUTE_PGM_RSRC2:TRAP_HANDLER: 0
; COMPUTE_PGM_RSRC2:TGID_X_EN: 1
; COMPUTE_PGM_RSRC2:TGID_Y_EN: 0
; COMPUTE_PGM_RSRC2:TGID_Z_EN: 0
; COMPUTE_PGM_RSRC2:TIDIG_COMP_CNT: 0
	.section	.text._Z21testAtomicOr_uniValueIiEvPT_Pb,"axG",@progbits,_Z21testAtomicOr_uniValueIiEvPT_Pb,comdat
	.protected	_Z21testAtomicOr_uniValueIiEvPT_Pb ; -- Begin function _Z21testAtomicOr_uniValueIiEvPT_Pb
	.globl	_Z21testAtomicOr_uniValueIiEvPT_Pb
	.p2align	8
	.type	_Z21testAtomicOr_uniValueIiEvPT_Pb,@function
_Z21testAtomicOr_uniValueIiEvPT_Pb:     ; @_Z21testAtomicOr_uniValueIiEvPT_Pb
; %bb.0:
	s_load_dword s7, s[4:5], 0x1c
	s_load_dwordx4 s[0:3], s[4:5], 0x0
	s_waitcnt lgkmcnt(0)
	s_and_b32 s4, s7, 0xffff
	s_mul_i32 s6, s6, s4
	v_add_u32_e32 v0, s6, v0
	global_load_ubyte v0, v0, s[2:3]
	s_waitcnt vmcnt(0)
	v_and_b32_e32 v0, 1, v0
	v_cmp_eq_u32_e32 vcc, 1, v0
	s_and_saveexec_b64 s[2:3], vcc
	s_cbranch_execz .LBB13_3
; %bb.1:
	v_mbcnt_lo_u32_b32 v0, exec_lo, 0
	v_mbcnt_hi_u32_b32 v0, exec_hi, v0
	v_cmp_eq_u32_e32 vcc, 0, v0
	s_and_b64 exec, exec, vcc
	s_cbranch_execz .LBB13_3
; %bb.2:
	v_mov_b32_e32 v0, 0
	v_mov_b32_e32 v1, 10
	global_atomic_or v0, v1, s[0:1] offset:20
.LBB13_3:
	s_endpgm
	.section	.rodata,"a",@progbits
	.p2align	6, 0x0
	.amdhsa_kernel _Z21testAtomicOr_uniValueIiEvPT_Pb
		.amdhsa_group_segment_fixed_size 0
		.amdhsa_private_segment_fixed_size 0
		.amdhsa_kernarg_size 272
		.amdhsa_user_sgpr_count 6
		.amdhsa_user_sgpr_private_segment_buffer 1
		.amdhsa_user_sgpr_dispatch_ptr 0
		.amdhsa_user_sgpr_queue_ptr 0
		.amdhsa_user_sgpr_kernarg_segment_ptr 1
		.amdhsa_user_sgpr_dispatch_id 0
		.amdhsa_user_sgpr_flat_scratch_init 0
		.amdhsa_user_sgpr_private_segment_size 0
		.amdhsa_uses_dynamic_stack 0
		.amdhsa_system_sgpr_private_segment_wavefront_offset 0
		.amdhsa_system_sgpr_workgroup_id_x 1
		.amdhsa_system_sgpr_workgroup_id_y 0
		.amdhsa_system_sgpr_workgroup_id_z 0
		.amdhsa_system_sgpr_workgroup_info 0
		.amdhsa_system_vgpr_workitem_id 0
		.amdhsa_next_free_vgpr 2
		.amdhsa_next_free_sgpr 8
		.amdhsa_reserve_vcc 1
		.amdhsa_reserve_flat_scratch 0
		.amdhsa_float_round_mode_32 0
		.amdhsa_float_round_mode_16_64 0
		.amdhsa_float_denorm_mode_32 3
		.amdhsa_float_denorm_mode_16_64 3
		.amdhsa_dx10_clamp 1
		.amdhsa_ieee_mode 1
		.amdhsa_fp16_overflow 0
		.amdhsa_exception_fp_ieee_invalid_op 0
		.amdhsa_exception_fp_denorm_src 0
		.amdhsa_exception_fp_ieee_div_zero 0
		.amdhsa_exception_fp_ieee_overflow 0
		.amdhsa_exception_fp_ieee_underflow 0
		.amdhsa_exception_fp_ieee_inexact 0
		.amdhsa_exception_int_div_zero 0
	.end_amdhsa_kernel
	.section	.text._Z21testAtomicOr_uniValueIiEvPT_Pb,"axG",@progbits,_Z21testAtomicOr_uniValueIiEvPT_Pb,comdat
.Lfunc_end13:
	.size	_Z21testAtomicOr_uniValueIiEvPT_Pb, .Lfunc_end13-_Z21testAtomicOr_uniValueIiEvPT_Pb
                                        ; -- End function
	.set _Z21testAtomicOr_uniValueIiEvPT_Pb.num_vgpr, 2
	.set _Z21testAtomicOr_uniValueIiEvPT_Pb.num_agpr, 0
	.set _Z21testAtomicOr_uniValueIiEvPT_Pb.numbered_sgpr, 8
	.set _Z21testAtomicOr_uniValueIiEvPT_Pb.num_named_barrier, 0
	.set _Z21testAtomicOr_uniValueIiEvPT_Pb.private_seg_size, 0
	.set _Z21testAtomicOr_uniValueIiEvPT_Pb.uses_vcc, 1
	.set _Z21testAtomicOr_uniValueIiEvPT_Pb.uses_flat_scratch, 0
	.set _Z21testAtomicOr_uniValueIiEvPT_Pb.has_dyn_sized_stack, 0
	.set _Z21testAtomicOr_uniValueIiEvPT_Pb.has_recursion, 0
	.set _Z21testAtomicOr_uniValueIiEvPT_Pb.has_indirect_call, 0
	.section	.AMDGPU.csdata,"",@progbits
; Kernel info:
; codeLenInByte = 112
; TotalNumSgprs: 12
; NumVgprs: 2
; ScratchSize: 0
; MemoryBound: 0
; FloatMode: 240
; IeeeMode: 1
; LDSByteSize: 0 bytes/workgroup (compile time only)
; SGPRBlocks: 1
; VGPRBlocks: 0
; NumSGPRsForWavesPerEU: 12
; NumVGPRsForWavesPerEU: 2
; Occupancy: 10
; WaveLimiterHint : 0
; COMPUTE_PGM_RSRC2:SCRATCH_EN: 0
; COMPUTE_PGM_RSRC2:USER_SGPR: 6
; COMPUTE_PGM_RSRC2:TRAP_HANDLER: 0
; COMPUTE_PGM_RSRC2:TGID_X_EN: 1
; COMPUTE_PGM_RSRC2:TGID_Y_EN: 0
; COMPUTE_PGM_RSRC2:TGID_Z_EN: 0
; COMPUTE_PGM_RSRC2:TIDIG_COMP_CNT: 0
	.section	.text._Z22testAtomicXor_uniValueIiEvPT_Pb,"axG",@progbits,_Z22testAtomicXor_uniValueIiEvPT_Pb,comdat
	.protected	_Z22testAtomicXor_uniValueIiEvPT_Pb ; -- Begin function _Z22testAtomicXor_uniValueIiEvPT_Pb
	.globl	_Z22testAtomicXor_uniValueIiEvPT_Pb
	.p2align	8
	.type	_Z22testAtomicXor_uniValueIiEvPT_Pb,@function
_Z22testAtomicXor_uniValueIiEvPT_Pb:    ; @_Z22testAtomicXor_uniValueIiEvPT_Pb
; %bb.0:
	s_load_dword s7, s[4:5], 0x1c
	s_load_dwordx4 s[0:3], s[4:5], 0x0
	s_waitcnt lgkmcnt(0)
	s_and_b32 s4, s7, 0xffff
	s_mul_i32 s6, s6, s4
	v_add_u32_e32 v0, s6, v0
	global_load_ubyte v0, v0, s[2:3]
	s_waitcnt vmcnt(0)
	v_and_b32_e32 v0, 1, v0
	v_cmp_eq_u32_e32 vcc, 1, v0
	s_and_saveexec_b64 s[2:3], vcc
	s_cbranch_execz .LBB14_3
; %bb.1:
	s_mov_b64 s[2:3], exec
	v_mbcnt_lo_u32_b32 v0, s2, 0
	v_mbcnt_hi_u32_b32 v0, s3, v0
	v_cmp_eq_u32_e32 vcc, 0, v0
	s_and_b64 s[4:5], exec, vcc
	s_mov_b64 exec, s[4:5]
	s_cbranch_execz .LBB14_3
; %bb.2:
	s_bcnt1_i32_b64 s2, s[2:3]
	s_and_b32 s2, s2, 1
	s_mul_i32 s2, s2, 10
	v_mov_b32_e32 v0, 0
	v_mov_b32_e32 v1, s2
	global_atomic_xor v0, v1, s[0:1] offset:24
.LBB14_3:
	s_endpgm
	.section	.rodata,"a",@progbits
	.p2align	6, 0x0
	.amdhsa_kernel _Z22testAtomicXor_uniValueIiEvPT_Pb
		.amdhsa_group_segment_fixed_size 0
		.amdhsa_private_segment_fixed_size 0
		.amdhsa_kernarg_size 272
		.amdhsa_user_sgpr_count 6
		.amdhsa_user_sgpr_private_segment_buffer 1
		.amdhsa_user_sgpr_dispatch_ptr 0
		.amdhsa_user_sgpr_queue_ptr 0
		.amdhsa_user_sgpr_kernarg_segment_ptr 1
		.amdhsa_user_sgpr_dispatch_id 0
		.amdhsa_user_sgpr_flat_scratch_init 0
		.amdhsa_user_sgpr_private_segment_size 0
		.amdhsa_uses_dynamic_stack 0
		.amdhsa_system_sgpr_private_segment_wavefront_offset 0
		.amdhsa_system_sgpr_workgroup_id_x 1
		.amdhsa_system_sgpr_workgroup_id_y 0
		.amdhsa_system_sgpr_workgroup_id_z 0
		.amdhsa_system_sgpr_workgroup_info 0
		.amdhsa_system_vgpr_workitem_id 0
		.amdhsa_next_free_vgpr 2
		.amdhsa_next_free_sgpr 8
		.amdhsa_reserve_vcc 1
		.amdhsa_reserve_flat_scratch 0
		.amdhsa_float_round_mode_32 0
		.amdhsa_float_round_mode_16_64 0
		.amdhsa_float_denorm_mode_32 3
		.amdhsa_float_denorm_mode_16_64 3
		.amdhsa_dx10_clamp 1
		.amdhsa_ieee_mode 1
		.amdhsa_fp16_overflow 0
		.amdhsa_exception_fp_ieee_invalid_op 0
		.amdhsa_exception_fp_denorm_src 0
		.amdhsa_exception_fp_ieee_div_zero 0
		.amdhsa_exception_fp_ieee_overflow 0
		.amdhsa_exception_fp_ieee_underflow 0
		.amdhsa_exception_fp_ieee_inexact 0
		.amdhsa_exception_int_div_zero 0
	.end_amdhsa_kernel
	.section	.text._Z22testAtomicXor_uniValueIiEvPT_Pb,"axG",@progbits,_Z22testAtomicXor_uniValueIiEvPT_Pb,comdat
.Lfunc_end14:
	.size	_Z22testAtomicXor_uniValueIiEvPT_Pb, .Lfunc_end14-_Z22testAtomicXor_uniValueIiEvPT_Pb
                                        ; -- End function
	.set _Z22testAtomicXor_uniValueIiEvPT_Pb.num_vgpr, 2
	.set _Z22testAtomicXor_uniValueIiEvPT_Pb.num_agpr, 0
	.set _Z22testAtomicXor_uniValueIiEvPT_Pb.numbered_sgpr, 8
	.set _Z22testAtomicXor_uniValueIiEvPT_Pb.num_named_barrier, 0
	.set _Z22testAtomicXor_uniValueIiEvPT_Pb.private_seg_size, 0
	.set _Z22testAtomicXor_uniValueIiEvPT_Pb.uses_vcc, 1
	.set _Z22testAtomicXor_uniValueIiEvPT_Pb.uses_flat_scratch, 0
	.set _Z22testAtomicXor_uniValueIiEvPT_Pb.has_dyn_sized_stack, 0
	.set _Z22testAtomicXor_uniValueIiEvPT_Pb.has_recursion, 0
	.set _Z22testAtomicXor_uniValueIiEvPT_Pb.has_indirect_call, 0
	.section	.AMDGPU.csdata,"",@progbits
; Kernel info:
; codeLenInByte = 132
; TotalNumSgprs: 12
; NumVgprs: 2
; ScratchSize: 0
; MemoryBound: 0
; FloatMode: 240
; IeeeMode: 1
; LDSByteSize: 0 bytes/workgroup (compile time only)
; SGPRBlocks: 1
; VGPRBlocks: 0
; NumSGPRsForWavesPerEU: 12
; NumVGPRsForWavesPerEU: 2
; Occupancy: 10
; WaveLimiterHint : 0
; COMPUTE_PGM_RSRC2:SCRATCH_EN: 0
; COMPUTE_PGM_RSRC2:USER_SGPR: 6
; COMPUTE_PGM_RSRC2:TRAP_HANDLER: 0
; COMPUTE_PGM_RSRC2:TGID_X_EN: 1
; COMPUTE_PGM_RSRC2:TGID_Y_EN: 0
; COMPUTE_PGM_RSRC2:TGID_Z_EN: 0
; COMPUTE_PGM_RSRC2:TIDIG_COMP_CNT: 0
	.section	.text._Z22testAtomicAdd_uniValueIjEvPT_Pb,"axG",@progbits,_Z22testAtomicAdd_uniValueIjEvPT_Pb,comdat
	.protected	_Z22testAtomicAdd_uniValueIjEvPT_Pb ; -- Begin function _Z22testAtomicAdd_uniValueIjEvPT_Pb
	.globl	_Z22testAtomicAdd_uniValueIjEvPT_Pb
	.p2align	8
	.type	_Z22testAtomicAdd_uniValueIjEvPT_Pb,@function
_Z22testAtomicAdd_uniValueIjEvPT_Pb:    ; @_Z22testAtomicAdd_uniValueIjEvPT_Pb
; %bb.0:
	s_load_dword s7, s[4:5], 0x1c
	s_load_dwordx4 s[0:3], s[4:5], 0x0
	s_waitcnt lgkmcnt(0)
	s_and_b32 s4, s7, 0xffff
	s_mul_i32 s6, s6, s4
	v_add_u32_e32 v0, s6, v0
	global_load_ubyte v0, v0, s[2:3]
	s_waitcnt vmcnt(0)
	v_and_b32_e32 v0, 1, v0
	v_cmp_eq_u32_e32 vcc, 1, v0
	s_and_saveexec_b64 s[2:3], vcc
	s_cbranch_execz .LBB15_3
; %bb.1:
	s_mov_b64 s[2:3], exec
	v_mbcnt_lo_u32_b32 v0, s2, 0
	v_mbcnt_hi_u32_b32 v0, s3, v0
	v_cmp_eq_u32_e32 vcc, 0, v0
	s_and_b64 s[4:5], exec, vcc
	s_mov_b64 exec, s[4:5]
	s_cbranch_execz .LBB15_3
; %bb.2:
	s_bcnt1_i32_b64 s2, s[2:3]
	s_mul_i32 s2, s2, 10
	v_mov_b32_e32 v0, 0
	v_mov_b32_e32 v1, s2
	global_atomic_add v0, v1, s[0:1]
.LBB15_3:
	s_endpgm
	.section	.rodata,"a",@progbits
	.p2align	6, 0x0
	.amdhsa_kernel _Z22testAtomicAdd_uniValueIjEvPT_Pb
		.amdhsa_group_segment_fixed_size 0
		.amdhsa_private_segment_fixed_size 0
		.amdhsa_kernarg_size 272
		.amdhsa_user_sgpr_count 6
		.amdhsa_user_sgpr_private_segment_buffer 1
		.amdhsa_user_sgpr_dispatch_ptr 0
		.amdhsa_user_sgpr_queue_ptr 0
		.amdhsa_user_sgpr_kernarg_segment_ptr 1
		.amdhsa_user_sgpr_dispatch_id 0
		.amdhsa_user_sgpr_flat_scratch_init 0
		.amdhsa_user_sgpr_private_segment_size 0
		.amdhsa_uses_dynamic_stack 0
		.amdhsa_system_sgpr_private_segment_wavefront_offset 0
		.amdhsa_system_sgpr_workgroup_id_x 1
		.amdhsa_system_sgpr_workgroup_id_y 0
		.amdhsa_system_sgpr_workgroup_id_z 0
		.amdhsa_system_sgpr_workgroup_info 0
		.amdhsa_system_vgpr_workitem_id 0
		.amdhsa_next_free_vgpr 2
		.amdhsa_next_free_sgpr 8
		.amdhsa_reserve_vcc 1
		.amdhsa_reserve_flat_scratch 0
		.amdhsa_float_round_mode_32 0
		.amdhsa_float_round_mode_16_64 0
		.amdhsa_float_denorm_mode_32 3
		.amdhsa_float_denorm_mode_16_64 3
		.amdhsa_dx10_clamp 1
		.amdhsa_ieee_mode 1
		.amdhsa_fp16_overflow 0
		.amdhsa_exception_fp_ieee_invalid_op 0
		.amdhsa_exception_fp_denorm_src 0
		.amdhsa_exception_fp_ieee_div_zero 0
		.amdhsa_exception_fp_ieee_overflow 0
		.amdhsa_exception_fp_ieee_underflow 0
		.amdhsa_exception_fp_ieee_inexact 0
		.amdhsa_exception_int_div_zero 0
	.end_amdhsa_kernel
	.section	.text._Z22testAtomicAdd_uniValueIjEvPT_Pb,"axG",@progbits,_Z22testAtomicAdd_uniValueIjEvPT_Pb,comdat
.Lfunc_end15:
	.size	_Z22testAtomicAdd_uniValueIjEvPT_Pb, .Lfunc_end15-_Z22testAtomicAdd_uniValueIjEvPT_Pb
                                        ; -- End function
	.set _Z22testAtomicAdd_uniValueIjEvPT_Pb.num_vgpr, 2
	.set _Z22testAtomicAdd_uniValueIjEvPT_Pb.num_agpr, 0
	.set _Z22testAtomicAdd_uniValueIjEvPT_Pb.numbered_sgpr, 8
	.set _Z22testAtomicAdd_uniValueIjEvPT_Pb.num_named_barrier, 0
	.set _Z22testAtomicAdd_uniValueIjEvPT_Pb.private_seg_size, 0
	.set _Z22testAtomicAdd_uniValueIjEvPT_Pb.uses_vcc, 1
	.set _Z22testAtomicAdd_uniValueIjEvPT_Pb.uses_flat_scratch, 0
	.set _Z22testAtomicAdd_uniValueIjEvPT_Pb.has_dyn_sized_stack, 0
	.set _Z22testAtomicAdd_uniValueIjEvPT_Pb.has_recursion, 0
	.set _Z22testAtomicAdd_uniValueIjEvPT_Pb.has_indirect_call, 0
	.section	.AMDGPU.csdata,"",@progbits
; Kernel info:
; codeLenInByte = 128
; TotalNumSgprs: 12
; NumVgprs: 2
; ScratchSize: 0
; MemoryBound: 0
; FloatMode: 240
; IeeeMode: 1
; LDSByteSize: 0 bytes/workgroup (compile time only)
; SGPRBlocks: 1
; VGPRBlocks: 0
; NumSGPRsForWavesPerEU: 12
; NumVGPRsForWavesPerEU: 2
; Occupancy: 10
; WaveLimiterHint : 0
; COMPUTE_PGM_RSRC2:SCRATCH_EN: 0
; COMPUTE_PGM_RSRC2:USER_SGPR: 6
; COMPUTE_PGM_RSRC2:TRAP_HANDLER: 0
; COMPUTE_PGM_RSRC2:TGID_X_EN: 1
; COMPUTE_PGM_RSRC2:TGID_Y_EN: 0
; COMPUTE_PGM_RSRC2:TGID_Z_EN: 0
; COMPUTE_PGM_RSRC2:TIDIG_COMP_CNT: 0
	.section	.text._Z22testAtomicSub_uniValueIjEvPT_Pb,"axG",@progbits,_Z22testAtomicSub_uniValueIjEvPT_Pb,comdat
	.protected	_Z22testAtomicSub_uniValueIjEvPT_Pb ; -- Begin function _Z22testAtomicSub_uniValueIjEvPT_Pb
	.globl	_Z22testAtomicSub_uniValueIjEvPT_Pb
	.p2align	8
	.type	_Z22testAtomicSub_uniValueIjEvPT_Pb,@function
_Z22testAtomicSub_uniValueIjEvPT_Pb:    ; @_Z22testAtomicSub_uniValueIjEvPT_Pb
; %bb.0:
	s_load_dword s7, s[4:5], 0x1c
	s_load_dwordx4 s[0:3], s[4:5], 0x0
	s_waitcnt lgkmcnt(0)
	s_and_b32 s4, s7, 0xffff
	s_mul_i32 s6, s6, s4
	v_add_u32_e32 v0, s6, v0
	global_load_ubyte v0, v0, s[2:3]
	s_waitcnt vmcnt(0)
	v_and_b32_e32 v0, 1, v0
	v_cmp_eq_u32_e32 vcc, 1, v0
	s_and_saveexec_b64 s[2:3], vcc
	s_cbranch_execz .LBB16_3
; %bb.1:
	s_mov_b64 s[2:3], exec
	v_mbcnt_lo_u32_b32 v0, s2, 0
	v_mbcnt_hi_u32_b32 v0, s3, v0
	v_cmp_eq_u32_e32 vcc, 0, v0
	s_and_b64 s[4:5], exec, vcc
	s_mov_b64 exec, s[4:5]
	s_cbranch_execz .LBB16_3
; %bb.2:
	s_bcnt1_i32_b64 s2, s[2:3]
	s_mul_i32 s2, s2, -10
	v_mov_b32_e32 v0, 0
	v_mov_b32_e32 v1, s2
	global_atomic_add v0, v1, s[0:1] offset:4
.LBB16_3:
	s_endpgm
	.section	.rodata,"a",@progbits
	.p2align	6, 0x0
	.amdhsa_kernel _Z22testAtomicSub_uniValueIjEvPT_Pb
		.amdhsa_group_segment_fixed_size 0
		.amdhsa_private_segment_fixed_size 0
		.amdhsa_kernarg_size 272
		.amdhsa_user_sgpr_count 6
		.amdhsa_user_sgpr_private_segment_buffer 1
		.amdhsa_user_sgpr_dispatch_ptr 0
		.amdhsa_user_sgpr_queue_ptr 0
		.amdhsa_user_sgpr_kernarg_segment_ptr 1
		.amdhsa_user_sgpr_dispatch_id 0
		.amdhsa_user_sgpr_flat_scratch_init 0
		.amdhsa_user_sgpr_private_segment_size 0
		.amdhsa_uses_dynamic_stack 0
		.amdhsa_system_sgpr_private_segment_wavefront_offset 0
		.amdhsa_system_sgpr_workgroup_id_x 1
		.amdhsa_system_sgpr_workgroup_id_y 0
		.amdhsa_system_sgpr_workgroup_id_z 0
		.amdhsa_system_sgpr_workgroup_info 0
		.amdhsa_system_vgpr_workitem_id 0
		.amdhsa_next_free_vgpr 2
		.amdhsa_next_free_sgpr 8
		.amdhsa_reserve_vcc 1
		.amdhsa_reserve_flat_scratch 0
		.amdhsa_float_round_mode_32 0
		.amdhsa_float_round_mode_16_64 0
		.amdhsa_float_denorm_mode_32 3
		.amdhsa_float_denorm_mode_16_64 3
		.amdhsa_dx10_clamp 1
		.amdhsa_ieee_mode 1
		.amdhsa_fp16_overflow 0
		.amdhsa_exception_fp_ieee_invalid_op 0
		.amdhsa_exception_fp_denorm_src 0
		.amdhsa_exception_fp_ieee_div_zero 0
		.amdhsa_exception_fp_ieee_overflow 0
		.amdhsa_exception_fp_ieee_underflow 0
		.amdhsa_exception_fp_ieee_inexact 0
		.amdhsa_exception_int_div_zero 0
	.end_amdhsa_kernel
	.section	.text._Z22testAtomicSub_uniValueIjEvPT_Pb,"axG",@progbits,_Z22testAtomicSub_uniValueIjEvPT_Pb,comdat
.Lfunc_end16:
	.size	_Z22testAtomicSub_uniValueIjEvPT_Pb, .Lfunc_end16-_Z22testAtomicSub_uniValueIjEvPT_Pb
                                        ; -- End function
	.set _Z22testAtomicSub_uniValueIjEvPT_Pb.num_vgpr, 2
	.set _Z22testAtomicSub_uniValueIjEvPT_Pb.num_agpr, 0
	.set _Z22testAtomicSub_uniValueIjEvPT_Pb.numbered_sgpr, 8
	.set _Z22testAtomicSub_uniValueIjEvPT_Pb.num_named_barrier, 0
	.set _Z22testAtomicSub_uniValueIjEvPT_Pb.private_seg_size, 0
	.set _Z22testAtomicSub_uniValueIjEvPT_Pb.uses_vcc, 1
	.set _Z22testAtomicSub_uniValueIjEvPT_Pb.uses_flat_scratch, 0
	.set _Z22testAtomicSub_uniValueIjEvPT_Pb.has_dyn_sized_stack, 0
	.set _Z22testAtomicSub_uniValueIjEvPT_Pb.has_recursion, 0
	.set _Z22testAtomicSub_uniValueIjEvPT_Pb.has_indirect_call, 0
	.section	.AMDGPU.csdata,"",@progbits
; Kernel info:
; codeLenInByte = 128
; TotalNumSgprs: 12
; NumVgprs: 2
; ScratchSize: 0
; MemoryBound: 0
; FloatMode: 240
; IeeeMode: 1
; LDSByteSize: 0 bytes/workgroup (compile time only)
; SGPRBlocks: 1
; VGPRBlocks: 0
; NumSGPRsForWavesPerEU: 12
; NumVGPRsForWavesPerEU: 2
; Occupancy: 10
; WaveLimiterHint : 0
; COMPUTE_PGM_RSRC2:SCRATCH_EN: 0
; COMPUTE_PGM_RSRC2:USER_SGPR: 6
; COMPUTE_PGM_RSRC2:TRAP_HANDLER: 0
; COMPUTE_PGM_RSRC2:TGID_X_EN: 1
; COMPUTE_PGM_RSRC2:TGID_Y_EN: 0
; COMPUTE_PGM_RSRC2:TGID_Z_EN: 0
; COMPUTE_PGM_RSRC2:TIDIG_COMP_CNT: 0
	.section	.text._Z22testAtomicMax_uniValueIjEvPT_Pb,"axG",@progbits,_Z22testAtomicMax_uniValueIjEvPT_Pb,comdat
	.protected	_Z22testAtomicMax_uniValueIjEvPT_Pb ; -- Begin function _Z22testAtomicMax_uniValueIjEvPT_Pb
	.globl	_Z22testAtomicMax_uniValueIjEvPT_Pb
	.p2align	8
	.type	_Z22testAtomicMax_uniValueIjEvPT_Pb,@function
_Z22testAtomicMax_uniValueIjEvPT_Pb:    ; @_Z22testAtomicMax_uniValueIjEvPT_Pb
; %bb.0:
	s_load_dword s7, s[4:5], 0x1c
	s_load_dwordx4 s[0:3], s[4:5], 0x0
	s_waitcnt lgkmcnt(0)
	s_and_b32 s4, s7, 0xffff
	s_mul_i32 s6, s6, s4
	v_add_u32_e32 v0, s6, v0
	global_load_ubyte v0, v0, s[2:3]
	s_waitcnt vmcnt(0)
	v_and_b32_e32 v0, 1, v0
	v_cmp_eq_u32_e32 vcc, 1, v0
	s_and_saveexec_b64 s[2:3], vcc
	s_cbranch_execz .LBB17_3
; %bb.1:
	v_mbcnt_lo_u32_b32 v0, exec_lo, 0
	v_mbcnt_hi_u32_b32 v0, exec_hi, v0
	v_cmp_eq_u32_e32 vcc, 0, v0
	s_and_b64 exec, exec, vcc
	s_cbranch_execz .LBB17_3
; %bb.2:
	v_mov_b32_e32 v0, 0
	v_mov_b32_e32 v1, 10
	global_atomic_umax v0, v1, s[0:1] offset:8
.LBB17_3:
	s_endpgm
	.section	.rodata,"a",@progbits
	.p2align	6, 0x0
	.amdhsa_kernel _Z22testAtomicMax_uniValueIjEvPT_Pb
		.amdhsa_group_segment_fixed_size 0
		.amdhsa_private_segment_fixed_size 0
		.amdhsa_kernarg_size 272
		.amdhsa_user_sgpr_count 6
		.amdhsa_user_sgpr_private_segment_buffer 1
		.amdhsa_user_sgpr_dispatch_ptr 0
		.amdhsa_user_sgpr_queue_ptr 0
		.amdhsa_user_sgpr_kernarg_segment_ptr 1
		.amdhsa_user_sgpr_dispatch_id 0
		.amdhsa_user_sgpr_flat_scratch_init 0
		.amdhsa_user_sgpr_private_segment_size 0
		.amdhsa_uses_dynamic_stack 0
		.amdhsa_system_sgpr_private_segment_wavefront_offset 0
		.amdhsa_system_sgpr_workgroup_id_x 1
		.amdhsa_system_sgpr_workgroup_id_y 0
		.amdhsa_system_sgpr_workgroup_id_z 0
		.amdhsa_system_sgpr_workgroup_info 0
		.amdhsa_system_vgpr_workitem_id 0
		.amdhsa_next_free_vgpr 2
		.amdhsa_next_free_sgpr 8
		.amdhsa_reserve_vcc 1
		.amdhsa_reserve_flat_scratch 0
		.amdhsa_float_round_mode_32 0
		.amdhsa_float_round_mode_16_64 0
		.amdhsa_float_denorm_mode_32 3
		.amdhsa_float_denorm_mode_16_64 3
		.amdhsa_dx10_clamp 1
		.amdhsa_ieee_mode 1
		.amdhsa_fp16_overflow 0
		.amdhsa_exception_fp_ieee_invalid_op 0
		.amdhsa_exception_fp_denorm_src 0
		.amdhsa_exception_fp_ieee_div_zero 0
		.amdhsa_exception_fp_ieee_overflow 0
		.amdhsa_exception_fp_ieee_underflow 0
		.amdhsa_exception_fp_ieee_inexact 0
		.amdhsa_exception_int_div_zero 0
	.end_amdhsa_kernel
	.section	.text._Z22testAtomicMax_uniValueIjEvPT_Pb,"axG",@progbits,_Z22testAtomicMax_uniValueIjEvPT_Pb,comdat
.Lfunc_end17:
	.size	_Z22testAtomicMax_uniValueIjEvPT_Pb, .Lfunc_end17-_Z22testAtomicMax_uniValueIjEvPT_Pb
                                        ; -- End function
	.set _Z22testAtomicMax_uniValueIjEvPT_Pb.num_vgpr, 2
	.set _Z22testAtomicMax_uniValueIjEvPT_Pb.num_agpr, 0
	.set _Z22testAtomicMax_uniValueIjEvPT_Pb.numbered_sgpr, 8
	.set _Z22testAtomicMax_uniValueIjEvPT_Pb.num_named_barrier, 0
	.set _Z22testAtomicMax_uniValueIjEvPT_Pb.private_seg_size, 0
	.set _Z22testAtomicMax_uniValueIjEvPT_Pb.uses_vcc, 1
	.set _Z22testAtomicMax_uniValueIjEvPT_Pb.uses_flat_scratch, 0
	.set _Z22testAtomicMax_uniValueIjEvPT_Pb.has_dyn_sized_stack, 0
	.set _Z22testAtomicMax_uniValueIjEvPT_Pb.has_recursion, 0
	.set _Z22testAtomicMax_uniValueIjEvPT_Pb.has_indirect_call, 0
	.section	.AMDGPU.csdata,"",@progbits
; Kernel info:
; codeLenInByte = 112
; TotalNumSgprs: 12
; NumVgprs: 2
; ScratchSize: 0
; MemoryBound: 0
; FloatMode: 240
; IeeeMode: 1
; LDSByteSize: 0 bytes/workgroup (compile time only)
; SGPRBlocks: 1
; VGPRBlocks: 0
; NumSGPRsForWavesPerEU: 12
; NumVGPRsForWavesPerEU: 2
; Occupancy: 10
; WaveLimiterHint : 0
; COMPUTE_PGM_RSRC2:SCRATCH_EN: 0
; COMPUTE_PGM_RSRC2:USER_SGPR: 6
; COMPUTE_PGM_RSRC2:TRAP_HANDLER: 0
; COMPUTE_PGM_RSRC2:TGID_X_EN: 1
; COMPUTE_PGM_RSRC2:TGID_Y_EN: 0
; COMPUTE_PGM_RSRC2:TGID_Z_EN: 0
; COMPUTE_PGM_RSRC2:TIDIG_COMP_CNT: 0
	.section	.text._Z22testAtomicMin_uniValueIjEvPT_Pb,"axG",@progbits,_Z22testAtomicMin_uniValueIjEvPT_Pb,comdat
	.protected	_Z22testAtomicMin_uniValueIjEvPT_Pb ; -- Begin function _Z22testAtomicMin_uniValueIjEvPT_Pb
	.globl	_Z22testAtomicMin_uniValueIjEvPT_Pb
	.p2align	8
	.type	_Z22testAtomicMin_uniValueIjEvPT_Pb,@function
_Z22testAtomicMin_uniValueIjEvPT_Pb:    ; @_Z22testAtomicMin_uniValueIjEvPT_Pb
; %bb.0:
	s_load_dword s7, s[4:5], 0x1c
	s_load_dwordx4 s[0:3], s[4:5], 0x0
	s_waitcnt lgkmcnt(0)
	s_and_b32 s4, s7, 0xffff
	s_mul_i32 s6, s6, s4
	v_add_u32_e32 v0, s6, v0
	global_load_ubyte v0, v0, s[2:3]
	s_waitcnt vmcnt(0)
	v_and_b32_e32 v0, 1, v0
	v_cmp_eq_u32_e32 vcc, 1, v0
	s_and_saveexec_b64 s[2:3], vcc
	s_cbranch_execz .LBB18_3
; %bb.1:
	v_mbcnt_lo_u32_b32 v0, exec_lo, 0
	v_mbcnt_hi_u32_b32 v0, exec_hi, v0
	v_cmp_eq_u32_e32 vcc, 0, v0
	s_and_b64 exec, exec, vcc
	s_cbranch_execz .LBB18_3
; %bb.2:
	v_mov_b32_e32 v0, 0
	v_mov_b32_e32 v1, 10
	global_atomic_umin v0, v1, s[0:1] offset:12
.LBB18_3:
	s_endpgm
	.section	.rodata,"a",@progbits
	.p2align	6, 0x0
	.amdhsa_kernel _Z22testAtomicMin_uniValueIjEvPT_Pb
		.amdhsa_group_segment_fixed_size 0
		.amdhsa_private_segment_fixed_size 0
		.amdhsa_kernarg_size 272
		.amdhsa_user_sgpr_count 6
		.amdhsa_user_sgpr_private_segment_buffer 1
		.amdhsa_user_sgpr_dispatch_ptr 0
		.amdhsa_user_sgpr_queue_ptr 0
		.amdhsa_user_sgpr_kernarg_segment_ptr 1
		.amdhsa_user_sgpr_dispatch_id 0
		.amdhsa_user_sgpr_flat_scratch_init 0
		.amdhsa_user_sgpr_private_segment_size 0
		.amdhsa_uses_dynamic_stack 0
		.amdhsa_system_sgpr_private_segment_wavefront_offset 0
		.amdhsa_system_sgpr_workgroup_id_x 1
		.amdhsa_system_sgpr_workgroup_id_y 0
		.amdhsa_system_sgpr_workgroup_id_z 0
		.amdhsa_system_sgpr_workgroup_info 0
		.amdhsa_system_vgpr_workitem_id 0
		.amdhsa_next_free_vgpr 2
		.amdhsa_next_free_sgpr 8
		.amdhsa_reserve_vcc 1
		.amdhsa_reserve_flat_scratch 0
		.amdhsa_float_round_mode_32 0
		.amdhsa_float_round_mode_16_64 0
		.amdhsa_float_denorm_mode_32 3
		.amdhsa_float_denorm_mode_16_64 3
		.amdhsa_dx10_clamp 1
		.amdhsa_ieee_mode 1
		.amdhsa_fp16_overflow 0
		.amdhsa_exception_fp_ieee_invalid_op 0
		.amdhsa_exception_fp_denorm_src 0
		.amdhsa_exception_fp_ieee_div_zero 0
		.amdhsa_exception_fp_ieee_overflow 0
		.amdhsa_exception_fp_ieee_underflow 0
		.amdhsa_exception_fp_ieee_inexact 0
		.amdhsa_exception_int_div_zero 0
	.end_amdhsa_kernel
	.section	.text._Z22testAtomicMin_uniValueIjEvPT_Pb,"axG",@progbits,_Z22testAtomicMin_uniValueIjEvPT_Pb,comdat
.Lfunc_end18:
	.size	_Z22testAtomicMin_uniValueIjEvPT_Pb, .Lfunc_end18-_Z22testAtomicMin_uniValueIjEvPT_Pb
                                        ; -- End function
	.set _Z22testAtomicMin_uniValueIjEvPT_Pb.num_vgpr, 2
	.set _Z22testAtomicMin_uniValueIjEvPT_Pb.num_agpr, 0
	.set _Z22testAtomicMin_uniValueIjEvPT_Pb.numbered_sgpr, 8
	.set _Z22testAtomicMin_uniValueIjEvPT_Pb.num_named_barrier, 0
	.set _Z22testAtomicMin_uniValueIjEvPT_Pb.private_seg_size, 0
	.set _Z22testAtomicMin_uniValueIjEvPT_Pb.uses_vcc, 1
	.set _Z22testAtomicMin_uniValueIjEvPT_Pb.uses_flat_scratch, 0
	.set _Z22testAtomicMin_uniValueIjEvPT_Pb.has_dyn_sized_stack, 0
	.set _Z22testAtomicMin_uniValueIjEvPT_Pb.has_recursion, 0
	.set _Z22testAtomicMin_uniValueIjEvPT_Pb.has_indirect_call, 0
	.section	.AMDGPU.csdata,"",@progbits
; Kernel info:
; codeLenInByte = 112
; TotalNumSgprs: 12
; NumVgprs: 2
; ScratchSize: 0
; MemoryBound: 0
; FloatMode: 240
; IeeeMode: 1
; LDSByteSize: 0 bytes/workgroup (compile time only)
; SGPRBlocks: 1
; VGPRBlocks: 0
; NumSGPRsForWavesPerEU: 12
; NumVGPRsForWavesPerEU: 2
; Occupancy: 10
; WaveLimiterHint : 0
; COMPUTE_PGM_RSRC2:SCRATCH_EN: 0
; COMPUTE_PGM_RSRC2:USER_SGPR: 6
; COMPUTE_PGM_RSRC2:TRAP_HANDLER: 0
; COMPUTE_PGM_RSRC2:TGID_X_EN: 1
; COMPUTE_PGM_RSRC2:TGID_Y_EN: 0
; COMPUTE_PGM_RSRC2:TGID_Z_EN: 0
; COMPUTE_PGM_RSRC2:TIDIG_COMP_CNT: 0
	.section	.text._Z22testAtomicAnd_uniValueIjEvPT_Pb,"axG",@progbits,_Z22testAtomicAnd_uniValueIjEvPT_Pb,comdat
	.protected	_Z22testAtomicAnd_uniValueIjEvPT_Pb ; -- Begin function _Z22testAtomicAnd_uniValueIjEvPT_Pb
	.globl	_Z22testAtomicAnd_uniValueIjEvPT_Pb
	.p2align	8
	.type	_Z22testAtomicAnd_uniValueIjEvPT_Pb,@function
_Z22testAtomicAnd_uniValueIjEvPT_Pb:    ; @_Z22testAtomicAnd_uniValueIjEvPT_Pb
; %bb.0:
	s_load_dword s7, s[4:5], 0x1c
	s_load_dwordx4 s[0:3], s[4:5], 0x0
	s_waitcnt lgkmcnt(0)
	s_and_b32 s4, s7, 0xffff
	s_mul_i32 s6, s6, s4
	v_add_u32_e32 v0, s6, v0
	global_load_ubyte v0, v0, s[2:3]
	s_waitcnt vmcnt(0)
	v_and_b32_e32 v0, 1, v0
	v_cmp_eq_u32_e32 vcc, 1, v0
	s_and_saveexec_b64 s[2:3], vcc
	s_cbranch_execz .LBB19_3
; %bb.1:
	v_mbcnt_lo_u32_b32 v0, exec_lo, 0
	v_mbcnt_hi_u32_b32 v0, exec_hi, v0
	v_cmp_eq_u32_e32 vcc, 0, v0
	s_and_b64 exec, exec, vcc
	s_cbranch_execz .LBB19_3
; %bb.2:
	v_mov_b32_e32 v0, 0
	v_mov_b32_e32 v1, 10
	global_atomic_and v0, v1, s[0:1] offset:16
.LBB19_3:
	s_endpgm
	.section	.rodata,"a",@progbits
	.p2align	6, 0x0
	.amdhsa_kernel _Z22testAtomicAnd_uniValueIjEvPT_Pb
		.amdhsa_group_segment_fixed_size 0
		.amdhsa_private_segment_fixed_size 0
		.amdhsa_kernarg_size 272
		.amdhsa_user_sgpr_count 6
		.amdhsa_user_sgpr_private_segment_buffer 1
		.amdhsa_user_sgpr_dispatch_ptr 0
		.amdhsa_user_sgpr_queue_ptr 0
		.amdhsa_user_sgpr_kernarg_segment_ptr 1
		.amdhsa_user_sgpr_dispatch_id 0
		.amdhsa_user_sgpr_flat_scratch_init 0
		.amdhsa_user_sgpr_private_segment_size 0
		.amdhsa_uses_dynamic_stack 0
		.amdhsa_system_sgpr_private_segment_wavefront_offset 0
		.amdhsa_system_sgpr_workgroup_id_x 1
		.amdhsa_system_sgpr_workgroup_id_y 0
		.amdhsa_system_sgpr_workgroup_id_z 0
		.amdhsa_system_sgpr_workgroup_info 0
		.amdhsa_system_vgpr_workitem_id 0
		.amdhsa_next_free_vgpr 2
		.amdhsa_next_free_sgpr 8
		.amdhsa_reserve_vcc 1
		.amdhsa_reserve_flat_scratch 0
		.amdhsa_float_round_mode_32 0
		.amdhsa_float_round_mode_16_64 0
		.amdhsa_float_denorm_mode_32 3
		.amdhsa_float_denorm_mode_16_64 3
		.amdhsa_dx10_clamp 1
		.amdhsa_ieee_mode 1
		.amdhsa_fp16_overflow 0
		.amdhsa_exception_fp_ieee_invalid_op 0
		.amdhsa_exception_fp_denorm_src 0
		.amdhsa_exception_fp_ieee_div_zero 0
		.amdhsa_exception_fp_ieee_overflow 0
		.amdhsa_exception_fp_ieee_underflow 0
		.amdhsa_exception_fp_ieee_inexact 0
		.amdhsa_exception_int_div_zero 0
	.end_amdhsa_kernel
	.section	.text._Z22testAtomicAnd_uniValueIjEvPT_Pb,"axG",@progbits,_Z22testAtomicAnd_uniValueIjEvPT_Pb,comdat
.Lfunc_end19:
	.size	_Z22testAtomicAnd_uniValueIjEvPT_Pb, .Lfunc_end19-_Z22testAtomicAnd_uniValueIjEvPT_Pb
                                        ; -- End function
	.set _Z22testAtomicAnd_uniValueIjEvPT_Pb.num_vgpr, 2
	.set _Z22testAtomicAnd_uniValueIjEvPT_Pb.num_agpr, 0
	.set _Z22testAtomicAnd_uniValueIjEvPT_Pb.numbered_sgpr, 8
	.set _Z22testAtomicAnd_uniValueIjEvPT_Pb.num_named_barrier, 0
	.set _Z22testAtomicAnd_uniValueIjEvPT_Pb.private_seg_size, 0
	.set _Z22testAtomicAnd_uniValueIjEvPT_Pb.uses_vcc, 1
	.set _Z22testAtomicAnd_uniValueIjEvPT_Pb.uses_flat_scratch, 0
	.set _Z22testAtomicAnd_uniValueIjEvPT_Pb.has_dyn_sized_stack, 0
	.set _Z22testAtomicAnd_uniValueIjEvPT_Pb.has_recursion, 0
	.set _Z22testAtomicAnd_uniValueIjEvPT_Pb.has_indirect_call, 0
	.section	.AMDGPU.csdata,"",@progbits
; Kernel info:
; codeLenInByte = 112
; TotalNumSgprs: 12
; NumVgprs: 2
; ScratchSize: 0
; MemoryBound: 0
; FloatMode: 240
; IeeeMode: 1
; LDSByteSize: 0 bytes/workgroup (compile time only)
; SGPRBlocks: 1
; VGPRBlocks: 0
; NumSGPRsForWavesPerEU: 12
; NumVGPRsForWavesPerEU: 2
; Occupancy: 10
; WaveLimiterHint : 0
; COMPUTE_PGM_RSRC2:SCRATCH_EN: 0
; COMPUTE_PGM_RSRC2:USER_SGPR: 6
; COMPUTE_PGM_RSRC2:TRAP_HANDLER: 0
; COMPUTE_PGM_RSRC2:TGID_X_EN: 1
; COMPUTE_PGM_RSRC2:TGID_Y_EN: 0
; COMPUTE_PGM_RSRC2:TGID_Z_EN: 0
; COMPUTE_PGM_RSRC2:TIDIG_COMP_CNT: 0
	.section	.text._Z21testAtomicOr_uniValueIjEvPT_Pb,"axG",@progbits,_Z21testAtomicOr_uniValueIjEvPT_Pb,comdat
	.protected	_Z21testAtomicOr_uniValueIjEvPT_Pb ; -- Begin function _Z21testAtomicOr_uniValueIjEvPT_Pb
	.globl	_Z21testAtomicOr_uniValueIjEvPT_Pb
	.p2align	8
	.type	_Z21testAtomicOr_uniValueIjEvPT_Pb,@function
_Z21testAtomicOr_uniValueIjEvPT_Pb:     ; @_Z21testAtomicOr_uniValueIjEvPT_Pb
; %bb.0:
	s_load_dword s7, s[4:5], 0x1c
	s_load_dwordx4 s[0:3], s[4:5], 0x0
	s_waitcnt lgkmcnt(0)
	s_and_b32 s4, s7, 0xffff
	s_mul_i32 s6, s6, s4
	v_add_u32_e32 v0, s6, v0
	global_load_ubyte v0, v0, s[2:3]
	s_waitcnt vmcnt(0)
	v_and_b32_e32 v0, 1, v0
	v_cmp_eq_u32_e32 vcc, 1, v0
	s_and_saveexec_b64 s[2:3], vcc
	s_cbranch_execz .LBB20_3
; %bb.1:
	v_mbcnt_lo_u32_b32 v0, exec_lo, 0
	v_mbcnt_hi_u32_b32 v0, exec_hi, v0
	v_cmp_eq_u32_e32 vcc, 0, v0
	s_and_b64 exec, exec, vcc
	s_cbranch_execz .LBB20_3
; %bb.2:
	v_mov_b32_e32 v0, 0
	v_mov_b32_e32 v1, 10
	global_atomic_or v0, v1, s[0:1] offset:20
.LBB20_3:
	s_endpgm
	.section	.rodata,"a",@progbits
	.p2align	6, 0x0
	.amdhsa_kernel _Z21testAtomicOr_uniValueIjEvPT_Pb
		.amdhsa_group_segment_fixed_size 0
		.amdhsa_private_segment_fixed_size 0
		.amdhsa_kernarg_size 272
		.amdhsa_user_sgpr_count 6
		.amdhsa_user_sgpr_private_segment_buffer 1
		.amdhsa_user_sgpr_dispatch_ptr 0
		.amdhsa_user_sgpr_queue_ptr 0
		.amdhsa_user_sgpr_kernarg_segment_ptr 1
		.amdhsa_user_sgpr_dispatch_id 0
		.amdhsa_user_sgpr_flat_scratch_init 0
		.amdhsa_user_sgpr_private_segment_size 0
		.amdhsa_uses_dynamic_stack 0
		.amdhsa_system_sgpr_private_segment_wavefront_offset 0
		.amdhsa_system_sgpr_workgroup_id_x 1
		.amdhsa_system_sgpr_workgroup_id_y 0
		.amdhsa_system_sgpr_workgroup_id_z 0
		.amdhsa_system_sgpr_workgroup_info 0
		.amdhsa_system_vgpr_workitem_id 0
		.amdhsa_next_free_vgpr 2
		.amdhsa_next_free_sgpr 8
		.amdhsa_reserve_vcc 1
		.amdhsa_reserve_flat_scratch 0
		.amdhsa_float_round_mode_32 0
		.amdhsa_float_round_mode_16_64 0
		.amdhsa_float_denorm_mode_32 3
		.amdhsa_float_denorm_mode_16_64 3
		.amdhsa_dx10_clamp 1
		.amdhsa_ieee_mode 1
		.amdhsa_fp16_overflow 0
		.amdhsa_exception_fp_ieee_invalid_op 0
		.amdhsa_exception_fp_denorm_src 0
		.amdhsa_exception_fp_ieee_div_zero 0
		.amdhsa_exception_fp_ieee_overflow 0
		.amdhsa_exception_fp_ieee_underflow 0
		.amdhsa_exception_fp_ieee_inexact 0
		.amdhsa_exception_int_div_zero 0
	.end_amdhsa_kernel
	.section	.text._Z21testAtomicOr_uniValueIjEvPT_Pb,"axG",@progbits,_Z21testAtomicOr_uniValueIjEvPT_Pb,comdat
.Lfunc_end20:
	.size	_Z21testAtomicOr_uniValueIjEvPT_Pb, .Lfunc_end20-_Z21testAtomicOr_uniValueIjEvPT_Pb
                                        ; -- End function
	.set _Z21testAtomicOr_uniValueIjEvPT_Pb.num_vgpr, 2
	.set _Z21testAtomicOr_uniValueIjEvPT_Pb.num_agpr, 0
	.set _Z21testAtomicOr_uniValueIjEvPT_Pb.numbered_sgpr, 8
	.set _Z21testAtomicOr_uniValueIjEvPT_Pb.num_named_barrier, 0
	.set _Z21testAtomicOr_uniValueIjEvPT_Pb.private_seg_size, 0
	.set _Z21testAtomicOr_uniValueIjEvPT_Pb.uses_vcc, 1
	.set _Z21testAtomicOr_uniValueIjEvPT_Pb.uses_flat_scratch, 0
	.set _Z21testAtomicOr_uniValueIjEvPT_Pb.has_dyn_sized_stack, 0
	.set _Z21testAtomicOr_uniValueIjEvPT_Pb.has_recursion, 0
	.set _Z21testAtomicOr_uniValueIjEvPT_Pb.has_indirect_call, 0
	.section	.AMDGPU.csdata,"",@progbits
; Kernel info:
; codeLenInByte = 112
; TotalNumSgprs: 12
; NumVgprs: 2
; ScratchSize: 0
; MemoryBound: 0
; FloatMode: 240
; IeeeMode: 1
; LDSByteSize: 0 bytes/workgroup (compile time only)
; SGPRBlocks: 1
; VGPRBlocks: 0
; NumSGPRsForWavesPerEU: 12
; NumVGPRsForWavesPerEU: 2
; Occupancy: 10
; WaveLimiterHint : 0
; COMPUTE_PGM_RSRC2:SCRATCH_EN: 0
; COMPUTE_PGM_RSRC2:USER_SGPR: 6
; COMPUTE_PGM_RSRC2:TRAP_HANDLER: 0
; COMPUTE_PGM_RSRC2:TGID_X_EN: 1
; COMPUTE_PGM_RSRC2:TGID_Y_EN: 0
; COMPUTE_PGM_RSRC2:TGID_Z_EN: 0
; COMPUTE_PGM_RSRC2:TIDIG_COMP_CNT: 0
	.section	.text._Z22testAtomicXor_uniValueIjEvPT_Pb,"axG",@progbits,_Z22testAtomicXor_uniValueIjEvPT_Pb,comdat
	.protected	_Z22testAtomicXor_uniValueIjEvPT_Pb ; -- Begin function _Z22testAtomicXor_uniValueIjEvPT_Pb
	.globl	_Z22testAtomicXor_uniValueIjEvPT_Pb
	.p2align	8
	.type	_Z22testAtomicXor_uniValueIjEvPT_Pb,@function
_Z22testAtomicXor_uniValueIjEvPT_Pb:    ; @_Z22testAtomicXor_uniValueIjEvPT_Pb
; %bb.0:
	s_load_dword s7, s[4:5], 0x1c
	s_load_dwordx4 s[0:3], s[4:5], 0x0
	s_waitcnt lgkmcnt(0)
	s_and_b32 s4, s7, 0xffff
	s_mul_i32 s6, s6, s4
	v_add_u32_e32 v0, s6, v0
	global_load_ubyte v0, v0, s[2:3]
	s_waitcnt vmcnt(0)
	v_and_b32_e32 v0, 1, v0
	v_cmp_eq_u32_e32 vcc, 1, v0
	s_and_saveexec_b64 s[2:3], vcc
	s_cbranch_execz .LBB21_3
; %bb.1:
	s_mov_b64 s[2:3], exec
	v_mbcnt_lo_u32_b32 v0, s2, 0
	v_mbcnt_hi_u32_b32 v0, s3, v0
	v_cmp_eq_u32_e32 vcc, 0, v0
	s_and_b64 s[4:5], exec, vcc
	s_mov_b64 exec, s[4:5]
	s_cbranch_execz .LBB21_3
; %bb.2:
	s_bcnt1_i32_b64 s2, s[2:3]
	s_and_b32 s2, s2, 1
	s_mul_i32 s2, s2, 10
	v_mov_b32_e32 v0, 0
	v_mov_b32_e32 v1, s2
	global_atomic_xor v0, v1, s[0:1] offset:24
.LBB21_3:
	s_endpgm
	.section	.rodata,"a",@progbits
	.p2align	6, 0x0
	.amdhsa_kernel _Z22testAtomicXor_uniValueIjEvPT_Pb
		.amdhsa_group_segment_fixed_size 0
		.amdhsa_private_segment_fixed_size 0
		.amdhsa_kernarg_size 272
		.amdhsa_user_sgpr_count 6
		.amdhsa_user_sgpr_private_segment_buffer 1
		.amdhsa_user_sgpr_dispatch_ptr 0
		.amdhsa_user_sgpr_queue_ptr 0
		.amdhsa_user_sgpr_kernarg_segment_ptr 1
		.amdhsa_user_sgpr_dispatch_id 0
		.amdhsa_user_sgpr_flat_scratch_init 0
		.amdhsa_user_sgpr_private_segment_size 0
		.amdhsa_uses_dynamic_stack 0
		.amdhsa_system_sgpr_private_segment_wavefront_offset 0
		.amdhsa_system_sgpr_workgroup_id_x 1
		.amdhsa_system_sgpr_workgroup_id_y 0
		.amdhsa_system_sgpr_workgroup_id_z 0
		.amdhsa_system_sgpr_workgroup_info 0
		.amdhsa_system_vgpr_workitem_id 0
		.amdhsa_next_free_vgpr 2
		.amdhsa_next_free_sgpr 8
		.amdhsa_reserve_vcc 1
		.amdhsa_reserve_flat_scratch 0
		.amdhsa_float_round_mode_32 0
		.amdhsa_float_round_mode_16_64 0
		.amdhsa_float_denorm_mode_32 3
		.amdhsa_float_denorm_mode_16_64 3
		.amdhsa_dx10_clamp 1
		.amdhsa_ieee_mode 1
		.amdhsa_fp16_overflow 0
		.amdhsa_exception_fp_ieee_invalid_op 0
		.amdhsa_exception_fp_denorm_src 0
		.amdhsa_exception_fp_ieee_div_zero 0
		.amdhsa_exception_fp_ieee_overflow 0
		.amdhsa_exception_fp_ieee_underflow 0
		.amdhsa_exception_fp_ieee_inexact 0
		.amdhsa_exception_int_div_zero 0
	.end_amdhsa_kernel
	.section	.text._Z22testAtomicXor_uniValueIjEvPT_Pb,"axG",@progbits,_Z22testAtomicXor_uniValueIjEvPT_Pb,comdat
.Lfunc_end21:
	.size	_Z22testAtomicXor_uniValueIjEvPT_Pb, .Lfunc_end21-_Z22testAtomicXor_uniValueIjEvPT_Pb
                                        ; -- End function
	.set _Z22testAtomicXor_uniValueIjEvPT_Pb.num_vgpr, 2
	.set _Z22testAtomicXor_uniValueIjEvPT_Pb.num_agpr, 0
	.set _Z22testAtomicXor_uniValueIjEvPT_Pb.numbered_sgpr, 8
	.set _Z22testAtomicXor_uniValueIjEvPT_Pb.num_named_barrier, 0
	.set _Z22testAtomicXor_uniValueIjEvPT_Pb.private_seg_size, 0
	.set _Z22testAtomicXor_uniValueIjEvPT_Pb.uses_vcc, 1
	.set _Z22testAtomicXor_uniValueIjEvPT_Pb.uses_flat_scratch, 0
	.set _Z22testAtomicXor_uniValueIjEvPT_Pb.has_dyn_sized_stack, 0
	.set _Z22testAtomicXor_uniValueIjEvPT_Pb.has_recursion, 0
	.set _Z22testAtomicXor_uniValueIjEvPT_Pb.has_indirect_call, 0
	.section	.AMDGPU.csdata,"",@progbits
; Kernel info:
; codeLenInByte = 132
; TotalNumSgprs: 12
; NumVgprs: 2
; ScratchSize: 0
; MemoryBound: 0
; FloatMode: 240
; IeeeMode: 1
; LDSByteSize: 0 bytes/workgroup (compile time only)
; SGPRBlocks: 1
; VGPRBlocks: 0
; NumSGPRsForWavesPerEU: 12
; NumVGPRsForWavesPerEU: 2
; Occupancy: 10
; WaveLimiterHint : 0
; COMPUTE_PGM_RSRC2:SCRATCH_EN: 0
; COMPUTE_PGM_RSRC2:USER_SGPR: 6
; COMPUTE_PGM_RSRC2:TRAP_HANDLER: 0
; COMPUTE_PGM_RSRC2:TGID_X_EN: 1
; COMPUTE_PGM_RSRC2:TGID_Y_EN: 0
; COMPUTE_PGM_RSRC2:TGID_Z_EN: 0
; COMPUTE_PGM_RSRC2:TIDIG_COMP_CNT: 0
	.section	.text._Z22testAtomicAdd_divValueIiEvPT_PbS1_,"axG",@progbits,_Z22testAtomicAdd_divValueIiEvPT_PbS1_,comdat
	.protected	_Z22testAtomicAdd_divValueIiEvPT_PbS1_ ; -- Begin function _Z22testAtomicAdd_divValueIiEvPT_PbS1_
	.globl	_Z22testAtomicAdd_divValueIiEvPT_PbS1_
	.p2align	8
	.type	_Z22testAtomicAdd_divValueIiEvPT_PbS1_,@function
_Z22testAtomicAdd_divValueIiEvPT_PbS1_: ; @_Z22testAtomicAdd_divValueIiEvPT_PbS1_
; %bb.0:
	s_load_dword s7, s[4:5], 0x24
	s_load_dwordx4 s[0:3], s[4:5], 0x0
	s_waitcnt lgkmcnt(0)
	s_and_b32 s7, s7, 0xffff
	s_mul_i32 s6, s6, s7
	v_add_u32_e32 v0, s6, v0
	global_load_ubyte v1, v0, s[2:3]
	s_waitcnt vmcnt(0)
	v_and_b32_e32 v1, 1, v1
	v_cmp_eq_u32_e32 vcc, 1, v1
	s_and_saveexec_b64 s[2:3], vcc
	s_cbranch_execz .LBB22_5
; %bb.1:
	s_load_dwordx2 s[4:5], s[4:5], 0x10
	v_mov_b32_e32 v1, 0
	v_lshlrev_b64 v[0:1], 2, v[0:1]
	s_mov_b64 s[2:3], exec
	s_waitcnt lgkmcnt(0)
	v_mov_b32_e32 v2, s5
	v_add_co_u32_e32 v0, vcc, s4, v0
	v_addc_co_u32_e32 v1, vcc, v2, v1, vcc
	global_load_dword v0, v[0:1], off
	s_mov_b32 s4, 0
.LBB22_2:                               ; =>This Inner Loop Header: Depth=1
	s_ff1_i32_b64 s5, s[2:3]
	s_waitcnt vmcnt(0)
	v_readlane_b32 s8, v0, s5
	s_lshl_b64 s[6:7], 1, s5
	s_add_i32 s4, s4, s8
	s_andn2_b64 s[2:3], s[2:3], s[6:7]
	s_cmp_lg_u64 s[2:3], 0
	s_cbranch_scc1 .LBB22_2
; %bb.3:
	v_mbcnt_lo_u32_b32 v0, exec_lo, 0
	v_mbcnt_hi_u32_b32 v0, exec_hi, v0
	v_cmp_eq_u32_e32 vcc, 0, v0
	s_and_saveexec_b64 s[2:3], vcc
	s_xor_b64 s[2:3], exec, s[2:3]
	s_cbranch_execz .LBB22_5
; %bb.4:
	v_mov_b32_e32 v0, 0
	v_mov_b32_e32 v1, s4
	global_atomic_add v0, v1, s[0:1]
.LBB22_5:
	s_endpgm
	.section	.rodata,"a",@progbits
	.p2align	6, 0x0
	.amdhsa_kernel _Z22testAtomicAdd_divValueIiEvPT_PbS1_
		.amdhsa_group_segment_fixed_size 0
		.amdhsa_private_segment_fixed_size 0
		.amdhsa_kernarg_size 280
		.amdhsa_user_sgpr_count 6
		.amdhsa_user_sgpr_private_segment_buffer 1
		.amdhsa_user_sgpr_dispatch_ptr 0
		.amdhsa_user_sgpr_queue_ptr 0
		.amdhsa_user_sgpr_kernarg_segment_ptr 1
		.amdhsa_user_sgpr_dispatch_id 0
		.amdhsa_user_sgpr_flat_scratch_init 0
		.amdhsa_user_sgpr_private_segment_size 0
		.amdhsa_uses_dynamic_stack 0
		.amdhsa_system_sgpr_private_segment_wavefront_offset 0
		.amdhsa_system_sgpr_workgroup_id_x 1
		.amdhsa_system_sgpr_workgroup_id_y 0
		.amdhsa_system_sgpr_workgroup_id_z 0
		.amdhsa_system_sgpr_workgroup_info 0
		.amdhsa_system_vgpr_workitem_id 0
		.amdhsa_next_free_vgpr 3
		.amdhsa_next_free_sgpr 9
		.amdhsa_reserve_vcc 1
		.amdhsa_reserve_flat_scratch 0
		.amdhsa_float_round_mode_32 0
		.amdhsa_float_round_mode_16_64 0
		.amdhsa_float_denorm_mode_32 3
		.amdhsa_float_denorm_mode_16_64 3
		.amdhsa_dx10_clamp 1
		.amdhsa_ieee_mode 1
		.amdhsa_fp16_overflow 0
		.amdhsa_exception_fp_ieee_invalid_op 0
		.amdhsa_exception_fp_denorm_src 0
		.amdhsa_exception_fp_ieee_div_zero 0
		.amdhsa_exception_fp_ieee_overflow 0
		.amdhsa_exception_fp_ieee_underflow 0
		.amdhsa_exception_fp_ieee_inexact 0
		.amdhsa_exception_int_div_zero 0
	.end_amdhsa_kernel
	.section	.text._Z22testAtomicAdd_divValueIiEvPT_PbS1_,"axG",@progbits,_Z22testAtomicAdd_divValueIiEvPT_PbS1_,comdat
.Lfunc_end22:
	.size	_Z22testAtomicAdd_divValueIiEvPT_PbS1_, .Lfunc_end22-_Z22testAtomicAdd_divValueIiEvPT_PbS1_
                                        ; -- End function
	.set _Z22testAtomicAdd_divValueIiEvPT_PbS1_.num_vgpr, 3
	.set _Z22testAtomicAdd_divValueIiEvPT_PbS1_.num_agpr, 0
	.set _Z22testAtomicAdd_divValueIiEvPT_PbS1_.numbered_sgpr, 9
	.set _Z22testAtomicAdd_divValueIiEvPT_PbS1_.num_named_barrier, 0
	.set _Z22testAtomicAdd_divValueIiEvPT_PbS1_.private_seg_size, 0
	.set _Z22testAtomicAdd_divValueIiEvPT_PbS1_.uses_vcc, 1
	.set _Z22testAtomicAdd_divValueIiEvPT_PbS1_.uses_flat_scratch, 0
	.set _Z22testAtomicAdd_divValueIiEvPT_PbS1_.has_dyn_sized_stack, 0
	.set _Z22testAtomicAdd_divValueIiEvPT_PbS1_.has_recursion, 0
	.set _Z22testAtomicAdd_divValueIiEvPT_PbS1_.has_indirect_call, 0
	.section	.AMDGPU.csdata,"",@progbits
; Kernel info:
; codeLenInByte = 204
; TotalNumSgprs: 13
; NumVgprs: 3
; ScratchSize: 0
; MemoryBound: 0
; FloatMode: 240
; IeeeMode: 1
; LDSByteSize: 0 bytes/workgroup (compile time only)
; SGPRBlocks: 1
; VGPRBlocks: 0
; NumSGPRsForWavesPerEU: 13
; NumVGPRsForWavesPerEU: 3
; Occupancy: 10
; WaveLimiterHint : 0
; COMPUTE_PGM_RSRC2:SCRATCH_EN: 0
; COMPUTE_PGM_RSRC2:USER_SGPR: 6
; COMPUTE_PGM_RSRC2:TRAP_HANDLER: 0
; COMPUTE_PGM_RSRC2:TGID_X_EN: 1
; COMPUTE_PGM_RSRC2:TGID_Y_EN: 0
; COMPUTE_PGM_RSRC2:TGID_Z_EN: 0
; COMPUTE_PGM_RSRC2:TIDIG_COMP_CNT: 0
	.section	.text._Z22testAtomicSub_divValueIiEvPT_PbS1_,"axG",@progbits,_Z22testAtomicSub_divValueIiEvPT_PbS1_,comdat
	.protected	_Z22testAtomicSub_divValueIiEvPT_PbS1_ ; -- Begin function _Z22testAtomicSub_divValueIiEvPT_PbS1_
	.globl	_Z22testAtomicSub_divValueIiEvPT_PbS1_
	.p2align	8
	.type	_Z22testAtomicSub_divValueIiEvPT_PbS1_,@function
_Z22testAtomicSub_divValueIiEvPT_PbS1_: ; @_Z22testAtomicSub_divValueIiEvPT_PbS1_
; %bb.0:
	s_load_dword s7, s[4:5], 0x24
	s_load_dwordx4 s[0:3], s[4:5], 0x0
	s_waitcnt lgkmcnt(0)
	s_and_b32 s7, s7, 0xffff
	s_mul_i32 s6, s6, s7
	v_add_u32_e32 v0, s6, v0
	global_load_ubyte v1, v0, s[2:3]
	s_waitcnt vmcnt(0)
	v_and_b32_e32 v1, 1, v1
	v_cmp_eq_u32_e32 vcc, 1, v1
	s_and_saveexec_b64 s[2:3], vcc
	s_cbranch_execz .LBB23_5
; %bb.1:
	s_load_dwordx2 s[4:5], s[4:5], 0x10
	v_mov_b32_e32 v1, 0
	v_lshlrev_b64 v[0:1], 2, v[0:1]
	s_mov_b64 s[2:3], exec
	s_waitcnt lgkmcnt(0)
	v_mov_b32_e32 v2, s5
	v_add_co_u32_e32 v0, vcc, s4, v0
	v_addc_co_u32_e32 v1, vcc, v2, v1, vcc
	global_load_dword v0, v[0:1], off
	s_mov_b32 s4, 0
	s_waitcnt vmcnt(0)
	v_sub_u32_e32 v0, 0, v0
.LBB23_2:                               ; =>This Inner Loop Header: Depth=1
	s_ff1_i32_b64 s5, s[2:3]
	v_readlane_b32 s8, v0, s5
	s_lshl_b64 s[6:7], 1, s5
	s_add_i32 s4, s4, s8
	s_andn2_b64 s[2:3], s[2:3], s[6:7]
	s_cmp_lg_u64 s[2:3], 0
	s_cbranch_scc1 .LBB23_2
; %bb.3:
	v_mbcnt_lo_u32_b32 v0, exec_lo, 0
	v_mbcnt_hi_u32_b32 v0, exec_hi, v0
	v_cmp_eq_u32_e32 vcc, 0, v0
	s_and_saveexec_b64 s[2:3], vcc
	s_xor_b64 s[2:3], exec, s[2:3]
	s_cbranch_execz .LBB23_5
; %bb.4:
	v_mov_b32_e32 v0, 0
	v_mov_b32_e32 v1, s4
	global_atomic_add v0, v1, s[0:1] offset:4
.LBB23_5:
	s_endpgm
	.section	.rodata,"a",@progbits
	.p2align	6, 0x0
	.amdhsa_kernel _Z22testAtomicSub_divValueIiEvPT_PbS1_
		.amdhsa_group_segment_fixed_size 0
		.amdhsa_private_segment_fixed_size 0
		.amdhsa_kernarg_size 280
		.amdhsa_user_sgpr_count 6
		.amdhsa_user_sgpr_private_segment_buffer 1
		.amdhsa_user_sgpr_dispatch_ptr 0
		.amdhsa_user_sgpr_queue_ptr 0
		.amdhsa_user_sgpr_kernarg_segment_ptr 1
		.amdhsa_user_sgpr_dispatch_id 0
		.amdhsa_user_sgpr_flat_scratch_init 0
		.amdhsa_user_sgpr_private_segment_size 0
		.amdhsa_uses_dynamic_stack 0
		.amdhsa_system_sgpr_private_segment_wavefront_offset 0
		.amdhsa_system_sgpr_workgroup_id_x 1
		.amdhsa_system_sgpr_workgroup_id_y 0
		.amdhsa_system_sgpr_workgroup_id_z 0
		.amdhsa_system_sgpr_workgroup_info 0
		.amdhsa_system_vgpr_workitem_id 0
		.amdhsa_next_free_vgpr 3
		.amdhsa_next_free_sgpr 9
		.amdhsa_reserve_vcc 1
		.amdhsa_reserve_flat_scratch 0
		.amdhsa_float_round_mode_32 0
		.amdhsa_float_round_mode_16_64 0
		.amdhsa_float_denorm_mode_32 3
		.amdhsa_float_denorm_mode_16_64 3
		.amdhsa_dx10_clamp 1
		.amdhsa_ieee_mode 1
		.amdhsa_fp16_overflow 0
		.amdhsa_exception_fp_ieee_invalid_op 0
		.amdhsa_exception_fp_denorm_src 0
		.amdhsa_exception_fp_ieee_div_zero 0
		.amdhsa_exception_fp_ieee_overflow 0
		.amdhsa_exception_fp_ieee_underflow 0
		.amdhsa_exception_fp_ieee_inexact 0
		.amdhsa_exception_int_div_zero 0
	.end_amdhsa_kernel
	.section	.text._Z22testAtomicSub_divValueIiEvPT_PbS1_,"axG",@progbits,_Z22testAtomicSub_divValueIiEvPT_PbS1_,comdat
.Lfunc_end23:
	.size	_Z22testAtomicSub_divValueIiEvPT_PbS1_, .Lfunc_end23-_Z22testAtomicSub_divValueIiEvPT_PbS1_
                                        ; -- End function
	.set _Z22testAtomicSub_divValueIiEvPT_PbS1_.num_vgpr, 3
	.set _Z22testAtomicSub_divValueIiEvPT_PbS1_.num_agpr, 0
	.set _Z22testAtomicSub_divValueIiEvPT_PbS1_.numbered_sgpr, 9
	.set _Z22testAtomicSub_divValueIiEvPT_PbS1_.num_named_barrier, 0
	.set _Z22testAtomicSub_divValueIiEvPT_PbS1_.private_seg_size, 0
	.set _Z22testAtomicSub_divValueIiEvPT_PbS1_.uses_vcc, 1
	.set _Z22testAtomicSub_divValueIiEvPT_PbS1_.uses_flat_scratch, 0
	.set _Z22testAtomicSub_divValueIiEvPT_PbS1_.has_dyn_sized_stack, 0
	.set _Z22testAtomicSub_divValueIiEvPT_PbS1_.has_recursion, 0
	.set _Z22testAtomicSub_divValueIiEvPT_PbS1_.has_indirect_call, 0
	.section	.AMDGPU.csdata,"",@progbits
; Kernel info:
; codeLenInByte = 208
; TotalNumSgprs: 13
; NumVgprs: 3
; ScratchSize: 0
; MemoryBound: 0
; FloatMode: 240
; IeeeMode: 1
; LDSByteSize: 0 bytes/workgroup (compile time only)
; SGPRBlocks: 1
; VGPRBlocks: 0
; NumSGPRsForWavesPerEU: 13
; NumVGPRsForWavesPerEU: 3
; Occupancy: 10
; WaveLimiterHint : 0
; COMPUTE_PGM_RSRC2:SCRATCH_EN: 0
; COMPUTE_PGM_RSRC2:USER_SGPR: 6
; COMPUTE_PGM_RSRC2:TRAP_HANDLER: 0
; COMPUTE_PGM_RSRC2:TGID_X_EN: 1
; COMPUTE_PGM_RSRC2:TGID_Y_EN: 0
; COMPUTE_PGM_RSRC2:TGID_Z_EN: 0
; COMPUTE_PGM_RSRC2:TIDIG_COMP_CNT: 0
	.section	.text._Z22testAtomicMax_divValueIiEvPT_PbS1_,"axG",@progbits,_Z22testAtomicMax_divValueIiEvPT_PbS1_,comdat
	.protected	_Z22testAtomicMax_divValueIiEvPT_PbS1_ ; -- Begin function _Z22testAtomicMax_divValueIiEvPT_PbS1_
	.globl	_Z22testAtomicMax_divValueIiEvPT_PbS1_
	.p2align	8
	.type	_Z22testAtomicMax_divValueIiEvPT_PbS1_,@function
_Z22testAtomicMax_divValueIiEvPT_PbS1_: ; @_Z22testAtomicMax_divValueIiEvPT_PbS1_
; %bb.0:
	s_load_dword s7, s[4:5], 0x24
	s_load_dwordx4 s[0:3], s[4:5], 0x0
	s_waitcnt lgkmcnt(0)
	s_and_b32 s7, s7, 0xffff
	s_mul_i32 s6, s6, s7
	v_add_u32_e32 v0, s6, v0
	global_load_ubyte v1, v0, s[2:3]
	s_waitcnt vmcnt(0)
	v_and_b32_e32 v1, 1, v1
	v_cmp_eq_u32_e32 vcc, 1, v1
	s_and_saveexec_b64 s[2:3], vcc
	s_cbranch_execz .LBB24_5
; %bb.1:
	s_load_dwordx2 s[4:5], s[4:5], 0x10
	v_mov_b32_e32 v1, 0
	v_lshlrev_b64 v[0:1], 2, v[0:1]
	s_mov_b64 s[2:3], exec
	s_waitcnt lgkmcnt(0)
	v_mov_b32_e32 v2, s5
	v_add_co_u32_e32 v0, vcc, s4, v0
	v_addc_co_u32_e32 v1, vcc, v2, v1, vcc
	global_load_dword v0, v[0:1], off
	s_brev_b32 s4, 1
.LBB24_2:                               ; =>This Inner Loop Header: Depth=1
	s_ff1_i32_b64 s5, s[2:3]
	s_waitcnt vmcnt(0)
	v_readlane_b32 s8, v0, s5
	s_lshl_b64 s[6:7], 1, s5
	s_max_i32 s4, s4, s8
	s_andn2_b64 s[2:3], s[2:3], s[6:7]
	s_cmp_lg_u64 s[2:3], 0
	s_cbranch_scc1 .LBB24_2
; %bb.3:
	v_mbcnt_lo_u32_b32 v0, exec_lo, 0
	v_mbcnt_hi_u32_b32 v0, exec_hi, v0
	v_cmp_eq_u32_e32 vcc, 0, v0
	s_and_saveexec_b64 s[2:3], vcc
	s_xor_b64 s[2:3], exec, s[2:3]
	s_cbranch_execz .LBB24_5
; %bb.4:
	v_mov_b32_e32 v0, 0
	v_mov_b32_e32 v1, s4
	global_atomic_smax v0, v1, s[0:1] offset:8
.LBB24_5:
	s_endpgm
	.section	.rodata,"a",@progbits
	.p2align	6, 0x0
	.amdhsa_kernel _Z22testAtomicMax_divValueIiEvPT_PbS1_
		.amdhsa_group_segment_fixed_size 0
		.amdhsa_private_segment_fixed_size 0
		.amdhsa_kernarg_size 280
		.amdhsa_user_sgpr_count 6
		.amdhsa_user_sgpr_private_segment_buffer 1
		.amdhsa_user_sgpr_dispatch_ptr 0
		.amdhsa_user_sgpr_queue_ptr 0
		.amdhsa_user_sgpr_kernarg_segment_ptr 1
		.amdhsa_user_sgpr_dispatch_id 0
		.amdhsa_user_sgpr_flat_scratch_init 0
		.amdhsa_user_sgpr_private_segment_size 0
		.amdhsa_uses_dynamic_stack 0
		.amdhsa_system_sgpr_private_segment_wavefront_offset 0
		.amdhsa_system_sgpr_workgroup_id_x 1
		.amdhsa_system_sgpr_workgroup_id_y 0
		.amdhsa_system_sgpr_workgroup_id_z 0
		.amdhsa_system_sgpr_workgroup_info 0
		.amdhsa_system_vgpr_workitem_id 0
		.amdhsa_next_free_vgpr 3
		.amdhsa_next_free_sgpr 9
		.amdhsa_reserve_vcc 1
		.amdhsa_reserve_flat_scratch 0
		.amdhsa_float_round_mode_32 0
		.amdhsa_float_round_mode_16_64 0
		.amdhsa_float_denorm_mode_32 3
		.amdhsa_float_denorm_mode_16_64 3
		.amdhsa_dx10_clamp 1
		.amdhsa_ieee_mode 1
		.amdhsa_fp16_overflow 0
		.amdhsa_exception_fp_ieee_invalid_op 0
		.amdhsa_exception_fp_denorm_src 0
		.amdhsa_exception_fp_ieee_div_zero 0
		.amdhsa_exception_fp_ieee_overflow 0
		.amdhsa_exception_fp_ieee_underflow 0
		.amdhsa_exception_fp_ieee_inexact 0
		.amdhsa_exception_int_div_zero 0
	.end_amdhsa_kernel
	.section	.text._Z22testAtomicMax_divValueIiEvPT_PbS1_,"axG",@progbits,_Z22testAtomicMax_divValueIiEvPT_PbS1_,comdat
.Lfunc_end24:
	.size	_Z22testAtomicMax_divValueIiEvPT_PbS1_, .Lfunc_end24-_Z22testAtomicMax_divValueIiEvPT_PbS1_
                                        ; -- End function
	.set _Z22testAtomicMax_divValueIiEvPT_PbS1_.num_vgpr, 3
	.set _Z22testAtomicMax_divValueIiEvPT_PbS1_.num_agpr, 0
	.set _Z22testAtomicMax_divValueIiEvPT_PbS1_.numbered_sgpr, 9
	.set _Z22testAtomicMax_divValueIiEvPT_PbS1_.num_named_barrier, 0
	.set _Z22testAtomicMax_divValueIiEvPT_PbS1_.private_seg_size, 0
	.set _Z22testAtomicMax_divValueIiEvPT_PbS1_.uses_vcc, 1
	.set _Z22testAtomicMax_divValueIiEvPT_PbS1_.uses_flat_scratch, 0
	.set _Z22testAtomicMax_divValueIiEvPT_PbS1_.has_dyn_sized_stack, 0
	.set _Z22testAtomicMax_divValueIiEvPT_PbS1_.has_recursion, 0
	.set _Z22testAtomicMax_divValueIiEvPT_PbS1_.has_indirect_call, 0
	.section	.AMDGPU.csdata,"",@progbits
; Kernel info:
; codeLenInByte = 204
; TotalNumSgprs: 13
; NumVgprs: 3
; ScratchSize: 0
; MemoryBound: 0
; FloatMode: 240
; IeeeMode: 1
; LDSByteSize: 0 bytes/workgroup (compile time only)
; SGPRBlocks: 1
; VGPRBlocks: 0
; NumSGPRsForWavesPerEU: 13
; NumVGPRsForWavesPerEU: 3
; Occupancy: 10
; WaveLimiterHint : 0
; COMPUTE_PGM_RSRC2:SCRATCH_EN: 0
; COMPUTE_PGM_RSRC2:USER_SGPR: 6
; COMPUTE_PGM_RSRC2:TRAP_HANDLER: 0
; COMPUTE_PGM_RSRC2:TGID_X_EN: 1
; COMPUTE_PGM_RSRC2:TGID_Y_EN: 0
; COMPUTE_PGM_RSRC2:TGID_Z_EN: 0
; COMPUTE_PGM_RSRC2:TIDIG_COMP_CNT: 0
	.section	.text._Z22testAtomicMin_divValueIiEvPT_PbS1_,"axG",@progbits,_Z22testAtomicMin_divValueIiEvPT_PbS1_,comdat
	.protected	_Z22testAtomicMin_divValueIiEvPT_PbS1_ ; -- Begin function _Z22testAtomicMin_divValueIiEvPT_PbS1_
	.globl	_Z22testAtomicMin_divValueIiEvPT_PbS1_
	.p2align	8
	.type	_Z22testAtomicMin_divValueIiEvPT_PbS1_,@function
_Z22testAtomicMin_divValueIiEvPT_PbS1_: ; @_Z22testAtomicMin_divValueIiEvPT_PbS1_
; %bb.0:
	s_load_dword s7, s[4:5], 0x24
	s_load_dwordx4 s[0:3], s[4:5], 0x0
	s_waitcnt lgkmcnt(0)
	s_and_b32 s7, s7, 0xffff
	s_mul_i32 s6, s6, s7
	v_add_u32_e32 v0, s6, v0
	global_load_ubyte v1, v0, s[2:3]
	s_waitcnt vmcnt(0)
	v_and_b32_e32 v1, 1, v1
	v_cmp_eq_u32_e32 vcc, 1, v1
	s_and_saveexec_b64 s[2:3], vcc
	s_cbranch_execz .LBB25_5
; %bb.1:
	s_load_dwordx2 s[4:5], s[4:5], 0x10
	v_mov_b32_e32 v1, 0
	v_lshlrev_b64 v[0:1], 2, v[0:1]
	s_mov_b64 s[2:3], exec
	s_waitcnt lgkmcnt(0)
	v_mov_b32_e32 v2, s5
	v_add_co_u32_e32 v0, vcc, s4, v0
	v_addc_co_u32_e32 v1, vcc, v2, v1, vcc
	global_load_dword v0, v[0:1], off
	s_brev_b32 s4, -2
.LBB25_2:                               ; =>This Inner Loop Header: Depth=1
	s_ff1_i32_b64 s5, s[2:3]
	s_waitcnt vmcnt(0)
	v_readlane_b32 s8, v0, s5
	s_lshl_b64 s[6:7], 1, s5
	s_min_i32 s4, s4, s8
	s_andn2_b64 s[2:3], s[2:3], s[6:7]
	s_cmp_lg_u64 s[2:3], 0
	s_cbranch_scc1 .LBB25_2
; %bb.3:
	v_mbcnt_lo_u32_b32 v0, exec_lo, 0
	v_mbcnt_hi_u32_b32 v0, exec_hi, v0
	v_cmp_eq_u32_e32 vcc, 0, v0
	s_and_saveexec_b64 s[2:3], vcc
	s_xor_b64 s[2:3], exec, s[2:3]
	s_cbranch_execz .LBB25_5
; %bb.4:
	v_mov_b32_e32 v0, 0
	v_mov_b32_e32 v1, s4
	global_atomic_smin v0, v1, s[0:1] offset:12
.LBB25_5:
	s_endpgm
	.section	.rodata,"a",@progbits
	.p2align	6, 0x0
	.amdhsa_kernel _Z22testAtomicMin_divValueIiEvPT_PbS1_
		.amdhsa_group_segment_fixed_size 0
		.amdhsa_private_segment_fixed_size 0
		.amdhsa_kernarg_size 280
		.amdhsa_user_sgpr_count 6
		.amdhsa_user_sgpr_private_segment_buffer 1
		.amdhsa_user_sgpr_dispatch_ptr 0
		.amdhsa_user_sgpr_queue_ptr 0
		.amdhsa_user_sgpr_kernarg_segment_ptr 1
		.amdhsa_user_sgpr_dispatch_id 0
		.amdhsa_user_sgpr_flat_scratch_init 0
		.amdhsa_user_sgpr_private_segment_size 0
		.amdhsa_uses_dynamic_stack 0
		.amdhsa_system_sgpr_private_segment_wavefront_offset 0
		.amdhsa_system_sgpr_workgroup_id_x 1
		.amdhsa_system_sgpr_workgroup_id_y 0
		.amdhsa_system_sgpr_workgroup_id_z 0
		.amdhsa_system_sgpr_workgroup_info 0
		.amdhsa_system_vgpr_workitem_id 0
		.amdhsa_next_free_vgpr 3
		.amdhsa_next_free_sgpr 9
		.amdhsa_reserve_vcc 1
		.amdhsa_reserve_flat_scratch 0
		.amdhsa_float_round_mode_32 0
		.amdhsa_float_round_mode_16_64 0
		.amdhsa_float_denorm_mode_32 3
		.amdhsa_float_denorm_mode_16_64 3
		.amdhsa_dx10_clamp 1
		.amdhsa_ieee_mode 1
		.amdhsa_fp16_overflow 0
		.amdhsa_exception_fp_ieee_invalid_op 0
		.amdhsa_exception_fp_denorm_src 0
		.amdhsa_exception_fp_ieee_div_zero 0
		.amdhsa_exception_fp_ieee_overflow 0
		.amdhsa_exception_fp_ieee_underflow 0
		.amdhsa_exception_fp_ieee_inexact 0
		.amdhsa_exception_int_div_zero 0
	.end_amdhsa_kernel
	.section	.text._Z22testAtomicMin_divValueIiEvPT_PbS1_,"axG",@progbits,_Z22testAtomicMin_divValueIiEvPT_PbS1_,comdat
.Lfunc_end25:
	.size	_Z22testAtomicMin_divValueIiEvPT_PbS1_, .Lfunc_end25-_Z22testAtomicMin_divValueIiEvPT_PbS1_
                                        ; -- End function
	.set _Z22testAtomicMin_divValueIiEvPT_PbS1_.num_vgpr, 3
	.set _Z22testAtomicMin_divValueIiEvPT_PbS1_.num_agpr, 0
	.set _Z22testAtomicMin_divValueIiEvPT_PbS1_.numbered_sgpr, 9
	.set _Z22testAtomicMin_divValueIiEvPT_PbS1_.num_named_barrier, 0
	.set _Z22testAtomicMin_divValueIiEvPT_PbS1_.private_seg_size, 0
	.set _Z22testAtomicMin_divValueIiEvPT_PbS1_.uses_vcc, 1
	.set _Z22testAtomicMin_divValueIiEvPT_PbS1_.uses_flat_scratch, 0
	.set _Z22testAtomicMin_divValueIiEvPT_PbS1_.has_dyn_sized_stack, 0
	.set _Z22testAtomicMin_divValueIiEvPT_PbS1_.has_recursion, 0
	.set _Z22testAtomicMin_divValueIiEvPT_PbS1_.has_indirect_call, 0
	.section	.AMDGPU.csdata,"",@progbits
; Kernel info:
; codeLenInByte = 204
; TotalNumSgprs: 13
; NumVgprs: 3
; ScratchSize: 0
; MemoryBound: 0
; FloatMode: 240
; IeeeMode: 1
; LDSByteSize: 0 bytes/workgroup (compile time only)
; SGPRBlocks: 1
; VGPRBlocks: 0
; NumSGPRsForWavesPerEU: 13
; NumVGPRsForWavesPerEU: 3
; Occupancy: 10
; WaveLimiterHint : 0
; COMPUTE_PGM_RSRC2:SCRATCH_EN: 0
; COMPUTE_PGM_RSRC2:USER_SGPR: 6
; COMPUTE_PGM_RSRC2:TRAP_HANDLER: 0
; COMPUTE_PGM_RSRC2:TGID_X_EN: 1
; COMPUTE_PGM_RSRC2:TGID_Y_EN: 0
; COMPUTE_PGM_RSRC2:TGID_Z_EN: 0
; COMPUTE_PGM_RSRC2:TIDIG_COMP_CNT: 0
	.section	.text._Z22testAtomicAnd_divValueIiEvPT_PbS1_,"axG",@progbits,_Z22testAtomicAnd_divValueIiEvPT_PbS1_,comdat
	.protected	_Z22testAtomicAnd_divValueIiEvPT_PbS1_ ; -- Begin function _Z22testAtomicAnd_divValueIiEvPT_PbS1_
	.globl	_Z22testAtomicAnd_divValueIiEvPT_PbS1_
	.p2align	8
	.type	_Z22testAtomicAnd_divValueIiEvPT_PbS1_,@function
_Z22testAtomicAnd_divValueIiEvPT_PbS1_: ; @_Z22testAtomicAnd_divValueIiEvPT_PbS1_
; %bb.0:
	s_load_dword s7, s[4:5], 0x24
	s_load_dwordx4 s[0:3], s[4:5], 0x0
	s_waitcnt lgkmcnt(0)
	s_and_b32 s7, s7, 0xffff
	s_mul_i32 s6, s6, s7
	v_add_u32_e32 v0, s6, v0
	global_load_ubyte v1, v0, s[2:3]
	s_waitcnt vmcnt(0)
	v_and_b32_e32 v1, 1, v1
	v_cmp_eq_u32_e32 vcc, 1, v1
	s_and_saveexec_b64 s[2:3], vcc
	s_cbranch_execz .LBB26_5
; %bb.1:
	s_load_dwordx2 s[4:5], s[4:5], 0x10
	v_mov_b32_e32 v1, 0
	v_lshlrev_b64 v[0:1], 2, v[0:1]
	s_mov_b64 s[2:3], exec
	s_waitcnt lgkmcnt(0)
	v_mov_b32_e32 v2, s5
	v_add_co_u32_e32 v0, vcc, s4, v0
	v_addc_co_u32_e32 v1, vcc, v2, v1, vcc
	global_load_dword v0, v[0:1], off
	s_mov_b32 s4, -1
	s_waitcnt vmcnt(0)
	v_lshlrev_b32_e64 v0, v0, 1
	v_not_b32_e32 v0, v0
.LBB26_2:                               ; =>This Inner Loop Header: Depth=1
	s_ff1_i32_b64 s5, s[2:3]
	v_readlane_b32 s8, v0, s5
	s_lshl_b64 s[6:7], 1, s5
	s_and_b32 s4, s4, s8
	s_andn2_b64 s[2:3], s[2:3], s[6:7]
	s_cmp_lg_u64 s[2:3], 0
	s_cbranch_scc1 .LBB26_2
; %bb.3:
	v_mbcnt_lo_u32_b32 v0, exec_lo, 0
	v_mbcnt_hi_u32_b32 v0, exec_hi, v0
	v_cmp_eq_u32_e32 vcc, 0, v0
	s_and_saveexec_b64 s[2:3], vcc
	s_xor_b64 s[2:3], exec, s[2:3]
	s_cbranch_execz .LBB26_5
; %bb.4:
	v_mov_b32_e32 v0, 0
	v_mov_b32_e32 v1, s4
	global_atomic_and v0, v1, s[0:1] offset:16
.LBB26_5:
	s_endpgm
	.section	.rodata,"a",@progbits
	.p2align	6, 0x0
	.amdhsa_kernel _Z22testAtomicAnd_divValueIiEvPT_PbS1_
		.amdhsa_group_segment_fixed_size 0
		.amdhsa_private_segment_fixed_size 0
		.amdhsa_kernarg_size 280
		.amdhsa_user_sgpr_count 6
		.amdhsa_user_sgpr_private_segment_buffer 1
		.amdhsa_user_sgpr_dispatch_ptr 0
		.amdhsa_user_sgpr_queue_ptr 0
		.amdhsa_user_sgpr_kernarg_segment_ptr 1
		.amdhsa_user_sgpr_dispatch_id 0
		.amdhsa_user_sgpr_flat_scratch_init 0
		.amdhsa_user_sgpr_private_segment_size 0
		.amdhsa_uses_dynamic_stack 0
		.amdhsa_system_sgpr_private_segment_wavefront_offset 0
		.amdhsa_system_sgpr_workgroup_id_x 1
		.amdhsa_system_sgpr_workgroup_id_y 0
		.amdhsa_system_sgpr_workgroup_id_z 0
		.amdhsa_system_sgpr_workgroup_info 0
		.amdhsa_system_vgpr_workitem_id 0
		.amdhsa_next_free_vgpr 3
		.amdhsa_next_free_sgpr 9
		.amdhsa_reserve_vcc 1
		.amdhsa_reserve_flat_scratch 0
		.amdhsa_float_round_mode_32 0
		.amdhsa_float_round_mode_16_64 0
		.amdhsa_float_denorm_mode_32 3
		.amdhsa_float_denorm_mode_16_64 3
		.amdhsa_dx10_clamp 1
		.amdhsa_ieee_mode 1
		.amdhsa_fp16_overflow 0
		.amdhsa_exception_fp_ieee_invalid_op 0
		.amdhsa_exception_fp_denorm_src 0
		.amdhsa_exception_fp_ieee_div_zero 0
		.amdhsa_exception_fp_ieee_overflow 0
		.amdhsa_exception_fp_ieee_underflow 0
		.amdhsa_exception_fp_ieee_inexact 0
		.amdhsa_exception_int_div_zero 0
	.end_amdhsa_kernel
	.section	.text._Z22testAtomicAnd_divValueIiEvPT_PbS1_,"axG",@progbits,_Z22testAtomicAnd_divValueIiEvPT_PbS1_,comdat
.Lfunc_end26:
	.size	_Z22testAtomicAnd_divValueIiEvPT_PbS1_, .Lfunc_end26-_Z22testAtomicAnd_divValueIiEvPT_PbS1_
                                        ; -- End function
	.set _Z22testAtomicAnd_divValueIiEvPT_PbS1_.num_vgpr, 3
	.set _Z22testAtomicAnd_divValueIiEvPT_PbS1_.num_agpr, 0
	.set _Z22testAtomicAnd_divValueIiEvPT_PbS1_.numbered_sgpr, 9
	.set _Z22testAtomicAnd_divValueIiEvPT_PbS1_.num_named_barrier, 0
	.set _Z22testAtomicAnd_divValueIiEvPT_PbS1_.private_seg_size, 0
	.set _Z22testAtomicAnd_divValueIiEvPT_PbS1_.uses_vcc, 1
	.set _Z22testAtomicAnd_divValueIiEvPT_PbS1_.uses_flat_scratch, 0
	.set _Z22testAtomicAnd_divValueIiEvPT_PbS1_.has_dyn_sized_stack, 0
	.set _Z22testAtomicAnd_divValueIiEvPT_PbS1_.has_recursion, 0
	.set _Z22testAtomicAnd_divValueIiEvPT_PbS1_.has_indirect_call, 0
	.section	.AMDGPU.csdata,"",@progbits
; Kernel info:
; codeLenInByte = 216
; TotalNumSgprs: 13
; NumVgprs: 3
; ScratchSize: 0
; MemoryBound: 0
; FloatMode: 240
; IeeeMode: 1
; LDSByteSize: 0 bytes/workgroup (compile time only)
; SGPRBlocks: 1
; VGPRBlocks: 0
; NumSGPRsForWavesPerEU: 13
; NumVGPRsForWavesPerEU: 3
; Occupancy: 10
; WaveLimiterHint : 0
; COMPUTE_PGM_RSRC2:SCRATCH_EN: 0
; COMPUTE_PGM_RSRC2:USER_SGPR: 6
; COMPUTE_PGM_RSRC2:TRAP_HANDLER: 0
; COMPUTE_PGM_RSRC2:TGID_X_EN: 1
; COMPUTE_PGM_RSRC2:TGID_Y_EN: 0
; COMPUTE_PGM_RSRC2:TGID_Z_EN: 0
; COMPUTE_PGM_RSRC2:TIDIG_COMP_CNT: 0
	.section	.text._Z21testAtomicOr_divValueIiEvPT_PbS1_,"axG",@progbits,_Z21testAtomicOr_divValueIiEvPT_PbS1_,comdat
	.protected	_Z21testAtomicOr_divValueIiEvPT_PbS1_ ; -- Begin function _Z21testAtomicOr_divValueIiEvPT_PbS1_
	.globl	_Z21testAtomicOr_divValueIiEvPT_PbS1_
	.p2align	8
	.type	_Z21testAtomicOr_divValueIiEvPT_PbS1_,@function
_Z21testAtomicOr_divValueIiEvPT_PbS1_:  ; @_Z21testAtomicOr_divValueIiEvPT_PbS1_
; %bb.0:
	s_load_dword s7, s[4:5], 0x24
	s_load_dwordx4 s[0:3], s[4:5], 0x0
	s_waitcnt lgkmcnt(0)
	s_and_b32 s7, s7, 0xffff
	s_mul_i32 s6, s6, s7
	v_add_u32_e32 v0, s6, v0
	global_load_ubyte v1, v0, s[2:3]
	s_waitcnt vmcnt(0)
	v_and_b32_e32 v1, 1, v1
	v_cmp_eq_u32_e32 vcc, 1, v1
	s_and_saveexec_b64 s[2:3], vcc
	s_cbranch_execz .LBB27_5
; %bb.1:
	s_load_dwordx2 s[4:5], s[4:5], 0x10
	v_mov_b32_e32 v1, 0
	v_lshlrev_b64 v[0:1], 2, v[0:1]
	s_mov_b64 s[2:3], exec
	s_waitcnt lgkmcnt(0)
	v_mov_b32_e32 v2, s5
	v_add_co_u32_e32 v0, vcc, s4, v0
	v_addc_co_u32_e32 v1, vcc, v2, v1, vcc
	global_load_dword v0, v[0:1], off
	s_mov_b32 s4, 0
	s_waitcnt vmcnt(0)
	v_lshlrev_b32_e64 v0, v0, 1
.LBB27_2:                               ; =>This Inner Loop Header: Depth=1
	s_ff1_i32_b64 s5, s[2:3]
	v_readlane_b32 s8, v0, s5
	s_lshl_b64 s[6:7], 1, s5
	s_or_b32 s4, s4, s8
	s_andn2_b64 s[2:3], s[2:3], s[6:7]
	s_cmp_lg_u64 s[2:3], 0
	s_cbranch_scc1 .LBB27_2
; %bb.3:
	v_mbcnt_lo_u32_b32 v0, exec_lo, 0
	v_mbcnt_hi_u32_b32 v0, exec_hi, v0
	v_cmp_eq_u32_e32 vcc, 0, v0
	s_and_saveexec_b64 s[2:3], vcc
	s_xor_b64 s[2:3], exec, s[2:3]
	s_cbranch_execz .LBB27_5
; %bb.4:
	v_mov_b32_e32 v0, 0
	v_mov_b32_e32 v1, s4
	global_atomic_or v0, v1, s[0:1] offset:20
.LBB27_5:
	s_endpgm
	.section	.rodata,"a",@progbits
	.p2align	6, 0x0
	.amdhsa_kernel _Z21testAtomicOr_divValueIiEvPT_PbS1_
		.amdhsa_group_segment_fixed_size 0
		.amdhsa_private_segment_fixed_size 0
		.amdhsa_kernarg_size 280
		.amdhsa_user_sgpr_count 6
		.amdhsa_user_sgpr_private_segment_buffer 1
		.amdhsa_user_sgpr_dispatch_ptr 0
		.amdhsa_user_sgpr_queue_ptr 0
		.amdhsa_user_sgpr_kernarg_segment_ptr 1
		.amdhsa_user_sgpr_dispatch_id 0
		.amdhsa_user_sgpr_flat_scratch_init 0
		.amdhsa_user_sgpr_private_segment_size 0
		.amdhsa_uses_dynamic_stack 0
		.amdhsa_system_sgpr_private_segment_wavefront_offset 0
		.amdhsa_system_sgpr_workgroup_id_x 1
		.amdhsa_system_sgpr_workgroup_id_y 0
		.amdhsa_system_sgpr_workgroup_id_z 0
		.amdhsa_system_sgpr_workgroup_info 0
		.amdhsa_system_vgpr_workitem_id 0
		.amdhsa_next_free_vgpr 3
		.amdhsa_next_free_sgpr 9
		.amdhsa_reserve_vcc 1
		.amdhsa_reserve_flat_scratch 0
		.amdhsa_float_round_mode_32 0
		.amdhsa_float_round_mode_16_64 0
		.amdhsa_float_denorm_mode_32 3
		.amdhsa_float_denorm_mode_16_64 3
		.amdhsa_dx10_clamp 1
		.amdhsa_ieee_mode 1
		.amdhsa_fp16_overflow 0
		.amdhsa_exception_fp_ieee_invalid_op 0
		.amdhsa_exception_fp_denorm_src 0
		.amdhsa_exception_fp_ieee_div_zero 0
		.amdhsa_exception_fp_ieee_overflow 0
		.amdhsa_exception_fp_ieee_underflow 0
		.amdhsa_exception_fp_ieee_inexact 0
		.amdhsa_exception_int_div_zero 0
	.end_amdhsa_kernel
	.section	.text._Z21testAtomicOr_divValueIiEvPT_PbS1_,"axG",@progbits,_Z21testAtomicOr_divValueIiEvPT_PbS1_,comdat
.Lfunc_end27:
	.size	_Z21testAtomicOr_divValueIiEvPT_PbS1_, .Lfunc_end27-_Z21testAtomicOr_divValueIiEvPT_PbS1_
                                        ; -- End function
	.set _Z21testAtomicOr_divValueIiEvPT_PbS1_.num_vgpr, 3
	.set _Z21testAtomicOr_divValueIiEvPT_PbS1_.num_agpr, 0
	.set _Z21testAtomicOr_divValueIiEvPT_PbS1_.numbered_sgpr, 9
	.set _Z21testAtomicOr_divValueIiEvPT_PbS1_.num_named_barrier, 0
	.set _Z21testAtomicOr_divValueIiEvPT_PbS1_.private_seg_size, 0
	.set _Z21testAtomicOr_divValueIiEvPT_PbS1_.uses_vcc, 1
	.set _Z21testAtomicOr_divValueIiEvPT_PbS1_.uses_flat_scratch, 0
	.set _Z21testAtomicOr_divValueIiEvPT_PbS1_.has_dyn_sized_stack, 0
	.set _Z21testAtomicOr_divValueIiEvPT_PbS1_.has_recursion, 0
	.set _Z21testAtomicOr_divValueIiEvPT_PbS1_.has_indirect_call, 0
	.section	.AMDGPU.csdata,"",@progbits
; Kernel info:
; codeLenInByte = 212
; TotalNumSgprs: 13
; NumVgprs: 3
; ScratchSize: 0
; MemoryBound: 0
; FloatMode: 240
; IeeeMode: 1
; LDSByteSize: 0 bytes/workgroup (compile time only)
; SGPRBlocks: 1
; VGPRBlocks: 0
; NumSGPRsForWavesPerEU: 13
; NumVGPRsForWavesPerEU: 3
; Occupancy: 10
; WaveLimiterHint : 0
; COMPUTE_PGM_RSRC2:SCRATCH_EN: 0
; COMPUTE_PGM_RSRC2:USER_SGPR: 6
; COMPUTE_PGM_RSRC2:TRAP_HANDLER: 0
; COMPUTE_PGM_RSRC2:TGID_X_EN: 1
; COMPUTE_PGM_RSRC2:TGID_Y_EN: 0
; COMPUTE_PGM_RSRC2:TGID_Z_EN: 0
; COMPUTE_PGM_RSRC2:TIDIG_COMP_CNT: 0
	.section	.text._Z22testAtomicXor_divValueIiEvPT_PbS1_,"axG",@progbits,_Z22testAtomicXor_divValueIiEvPT_PbS1_,comdat
	.protected	_Z22testAtomicXor_divValueIiEvPT_PbS1_ ; -- Begin function _Z22testAtomicXor_divValueIiEvPT_PbS1_
	.globl	_Z22testAtomicXor_divValueIiEvPT_PbS1_
	.p2align	8
	.type	_Z22testAtomicXor_divValueIiEvPT_PbS1_,@function
_Z22testAtomicXor_divValueIiEvPT_PbS1_: ; @_Z22testAtomicXor_divValueIiEvPT_PbS1_
; %bb.0:
	s_load_dword s7, s[4:5], 0x24
	s_load_dwordx4 s[0:3], s[4:5], 0x0
	s_waitcnt lgkmcnt(0)
	s_and_b32 s7, s7, 0xffff
	s_mul_i32 s6, s6, s7
	v_add_u32_e32 v0, s6, v0
	global_load_ubyte v1, v0, s[2:3]
	s_waitcnt vmcnt(0)
	v_and_b32_e32 v1, 1, v1
	v_cmp_eq_u32_e32 vcc, 1, v1
	s_and_saveexec_b64 s[2:3], vcc
	s_cbranch_execz .LBB28_5
; %bb.1:
	s_load_dwordx2 s[4:5], s[4:5], 0x10
	v_mov_b32_e32 v1, 0
	v_lshlrev_b64 v[0:1], 2, v[0:1]
	s_mov_b64 s[2:3], exec
	s_waitcnt lgkmcnt(0)
	v_mov_b32_e32 v2, s5
	v_add_co_u32_e32 v0, vcc, s4, v0
	v_addc_co_u32_e32 v1, vcc, v2, v1, vcc
	global_load_dword v0, v[0:1], off
	s_mov_b32 s4, 0
.LBB28_2:                               ; =>This Inner Loop Header: Depth=1
	s_ff1_i32_b64 s5, s[2:3]
	s_waitcnt vmcnt(0)
	v_readlane_b32 s8, v0, s5
	s_lshl_b64 s[6:7], 1, s5
	s_xor_b32 s4, s4, s8
	s_andn2_b64 s[2:3], s[2:3], s[6:7]
	s_cmp_lg_u64 s[2:3], 0
	s_cbranch_scc1 .LBB28_2
; %bb.3:
	v_mbcnt_lo_u32_b32 v0, exec_lo, 0
	v_mbcnt_hi_u32_b32 v0, exec_hi, v0
	v_cmp_eq_u32_e32 vcc, 0, v0
	s_and_saveexec_b64 s[2:3], vcc
	s_xor_b64 s[2:3], exec, s[2:3]
	s_cbranch_execz .LBB28_5
; %bb.4:
	v_mov_b32_e32 v0, 0
	v_mov_b32_e32 v1, s4
	global_atomic_xor v0, v1, s[0:1] offset:24
.LBB28_5:
	s_endpgm
	.section	.rodata,"a",@progbits
	.p2align	6, 0x0
	.amdhsa_kernel _Z22testAtomicXor_divValueIiEvPT_PbS1_
		.amdhsa_group_segment_fixed_size 0
		.amdhsa_private_segment_fixed_size 0
		.amdhsa_kernarg_size 280
		.amdhsa_user_sgpr_count 6
		.amdhsa_user_sgpr_private_segment_buffer 1
		.amdhsa_user_sgpr_dispatch_ptr 0
		.amdhsa_user_sgpr_queue_ptr 0
		.amdhsa_user_sgpr_kernarg_segment_ptr 1
		.amdhsa_user_sgpr_dispatch_id 0
		.amdhsa_user_sgpr_flat_scratch_init 0
		.amdhsa_user_sgpr_private_segment_size 0
		.amdhsa_uses_dynamic_stack 0
		.amdhsa_system_sgpr_private_segment_wavefront_offset 0
		.amdhsa_system_sgpr_workgroup_id_x 1
		.amdhsa_system_sgpr_workgroup_id_y 0
		.amdhsa_system_sgpr_workgroup_id_z 0
		.amdhsa_system_sgpr_workgroup_info 0
		.amdhsa_system_vgpr_workitem_id 0
		.amdhsa_next_free_vgpr 3
		.amdhsa_next_free_sgpr 9
		.amdhsa_reserve_vcc 1
		.amdhsa_reserve_flat_scratch 0
		.amdhsa_float_round_mode_32 0
		.amdhsa_float_round_mode_16_64 0
		.amdhsa_float_denorm_mode_32 3
		.amdhsa_float_denorm_mode_16_64 3
		.amdhsa_dx10_clamp 1
		.amdhsa_ieee_mode 1
		.amdhsa_fp16_overflow 0
		.amdhsa_exception_fp_ieee_invalid_op 0
		.amdhsa_exception_fp_denorm_src 0
		.amdhsa_exception_fp_ieee_div_zero 0
		.amdhsa_exception_fp_ieee_overflow 0
		.amdhsa_exception_fp_ieee_underflow 0
		.amdhsa_exception_fp_ieee_inexact 0
		.amdhsa_exception_int_div_zero 0
	.end_amdhsa_kernel
	.section	.text._Z22testAtomicXor_divValueIiEvPT_PbS1_,"axG",@progbits,_Z22testAtomicXor_divValueIiEvPT_PbS1_,comdat
.Lfunc_end28:
	.size	_Z22testAtomicXor_divValueIiEvPT_PbS1_, .Lfunc_end28-_Z22testAtomicXor_divValueIiEvPT_PbS1_
                                        ; -- End function
	.set _Z22testAtomicXor_divValueIiEvPT_PbS1_.num_vgpr, 3
	.set _Z22testAtomicXor_divValueIiEvPT_PbS1_.num_agpr, 0
	.set _Z22testAtomicXor_divValueIiEvPT_PbS1_.numbered_sgpr, 9
	.set _Z22testAtomicXor_divValueIiEvPT_PbS1_.num_named_barrier, 0
	.set _Z22testAtomicXor_divValueIiEvPT_PbS1_.private_seg_size, 0
	.set _Z22testAtomicXor_divValueIiEvPT_PbS1_.uses_vcc, 1
	.set _Z22testAtomicXor_divValueIiEvPT_PbS1_.uses_flat_scratch, 0
	.set _Z22testAtomicXor_divValueIiEvPT_PbS1_.has_dyn_sized_stack, 0
	.set _Z22testAtomicXor_divValueIiEvPT_PbS1_.has_recursion, 0
	.set _Z22testAtomicXor_divValueIiEvPT_PbS1_.has_indirect_call, 0
	.section	.AMDGPU.csdata,"",@progbits
; Kernel info:
; codeLenInByte = 204
; TotalNumSgprs: 13
; NumVgprs: 3
; ScratchSize: 0
; MemoryBound: 0
; FloatMode: 240
; IeeeMode: 1
; LDSByteSize: 0 bytes/workgroup (compile time only)
; SGPRBlocks: 1
; VGPRBlocks: 0
; NumSGPRsForWavesPerEU: 13
; NumVGPRsForWavesPerEU: 3
; Occupancy: 10
; WaveLimiterHint : 0
; COMPUTE_PGM_RSRC2:SCRATCH_EN: 0
; COMPUTE_PGM_RSRC2:USER_SGPR: 6
; COMPUTE_PGM_RSRC2:TRAP_HANDLER: 0
; COMPUTE_PGM_RSRC2:TGID_X_EN: 1
; COMPUTE_PGM_RSRC2:TGID_Y_EN: 0
; COMPUTE_PGM_RSRC2:TGID_Z_EN: 0
; COMPUTE_PGM_RSRC2:TIDIG_COMP_CNT: 0
	.section	.text._Z22testAtomicAdd_divValueIjEvPT_PbS1_,"axG",@progbits,_Z22testAtomicAdd_divValueIjEvPT_PbS1_,comdat
	.protected	_Z22testAtomicAdd_divValueIjEvPT_PbS1_ ; -- Begin function _Z22testAtomicAdd_divValueIjEvPT_PbS1_
	.globl	_Z22testAtomicAdd_divValueIjEvPT_PbS1_
	.p2align	8
	.type	_Z22testAtomicAdd_divValueIjEvPT_PbS1_,@function
_Z22testAtomicAdd_divValueIjEvPT_PbS1_: ; @_Z22testAtomicAdd_divValueIjEvPT_PbS1_
; %bb.0:
	s_load_dword s7, s[4:5], 0x24
	s_load_dwordx4 s[0:3], s[4:5], 0x0
	s_waitcnt lgkmcnt(0)
	s_and_b32 s7, s7, 0xffff
	s_mul_i32 s6, s6, s7
	v_add_u32_e32 v0, s6, v0
	global_load_ubyte v1, v0, s[2:3]
	s_waitcnt vmcnt(0)
	v_and_b32_e32 v1, 1, v1
	v_cmp_eq_u32_e32 vcc, 1, v1
	s_and_saveexec_b64 s[2:3], vcc
	s_cbranch_execz .LBB29_5
; %bb.1:
	s_load_dwordx2 s[4:5], s[4:5], 0x10
	v_mov_b32_e32 v1, 0
	v_lshlrev_b64 v[0:1], 2, v[0:1]
	s_mov_b64 s[2:3], exec
	s_waitcnt lgkmcnt(0)
	v_mov_b32_e32 v2, s5
	v_add_co_u32_e32 v0, vcc, s4, v0
	v_addc_co_u32_e32 v1, vcc, v2, v1, vcc
	global_load_dword v0, v[0:1], off
	s_mov_b32 s4, 0
.LBB29_2:                               ; =>This Inner Loop Header: Depth=1
	s_ff1_i32_b64 s5, s[2:3]
	s_waitcnt vmcnt(0)
	v_readlane_b32 s8, v0, s5
	s_lshl_b64 s[6:7], 1, s5
	s_add_i32 s4, s4, s8
	s_andn2_b64 s[2:3], s[2:3], s[6:7]
	s_cmp_lg_u64 s[2:3], 0
	s_cbranch_scc1 .LBB29_2
; %bb.3:
	v_mbcnt_lo_u32_b32 v0, exec_lo, 0
	v_mbcnt_hi_u32_b32 v0, exec_hi, v0
	v_cmp_eq_u32_e32 vcc, 0, v0
	s_and_saveexec_b64 s[2:3], vcc
	s_xor_b64 s[2:3], exec, s[2:3]
	s_cbranch_execz .LBB29_5
; %bb.4:
	v_mov_b32_e32 v0, 0
	v_mov_b32_e32 v1, s4
	global_atomic_add v0, v1, s[0:1]
.LBB29_5:
	s_endpgm
	.section	.rodata,"a",@progbits
	.p2align	6, 0x0
	.amdhsa_kernel _Z22testAtomicAdd_divValueIjEvPT_PbS1_
		.amdhsa_group_segment_fixed_size 0
		.amdhsa_private_segment_fixed_size 0
		.amdhsa_kernarg_size 280
		.amdhsa_user_sgpr_count 6
		.amdhsa_user_sgpr_private_segment_buffer 1
		.amdhsa_user_sgpr_dispatch_ptr 0
		.amdhsa_user_sgpr_queue_ptr 0
		.amdhsa_user_sgpr_kernarg_segment_ptr 1
		.amdhsa_user_sgpr_dispatch_id 0
		.amdhsa_user_sgpr_flat_scratch_init 0
		.amdhsa_user_sgpr_private_segment_size 0
		.amdhsa_uses_dynamic_stack 0
		.amdhsa_system_sgpr_private_segment_wavefront_offset 0
		.amdhsa_system_sgpr_workgroup_id_x 1
		.amdhsa_system_sgpr_workgroup_id_y 0
		.amdhsa_system_sgpr_workgroup_id_z 0
		.amdhsa_system_sgpr_workgroup_info 0
		.amdhsa_system_vgpr_workitem_id 0
		.amdhsa_next_free_vgpr 3
		.amdhsa_next_free_sgpr 9
		.amdhsa_reserve_vcc 1
		.amdhsa_reserve_flat_scratch 0
		.amdhsa_float_round_mode_32 0
		.amdhsa_float_round_mode_16_64 0
		.amdhsa_float_denorm_mode_32 3
		.amdhsa_float_denorm_mode_16_64 3
		.amdhsa_dx10_clamp 1
		.amdhsa_ieee_mode 1
		.amdhsa_fp16_overflow 0
		.amdhsa_exception_fp_ieee_invalid_op 0
		.amdhsa_exception_fp_denorm_src 0
		.amdhsa_exception_fp_ieee_div_zero 0
		.amdhsa_exception_fp_ieee_overflow 0
		.amdhsa_exception_fp_ieee_underflow 0
		.amdhsa_exception_fp_ieee_inexact 0
		.amdhsa_exception_int_div_zero 0
	.end_amdhsa_kernel
	.section	.text._Z22testAtomicAdd_divValueIjEvPT_PbS1_,"axG",@progbits,_Z22testAtomicAdd_divValueIjEvPT_PbS1_,comdat
.Lfunc_end29:
	.size	_Z22testAtomicAdd_divValueIjEvPT_PbS1_, .Lfunc_end29-_Z22testAtomicAdd_divValueIjEvPT_PbS1_
                                        ; -- End function
	.set _Z22testAtomicAdd_divValueIjEvPT_PbS1_.num_vgpr, 3
	.set _Z22testAtomicAdd_divValueIjEvPT_PbS1_.num_agpr, 0
	.set _Z22testAtomicAdd_divValueIjEvPT_PbS1_.numbered_sgpr, 9
	.set _Z22testAtomicAdd_divValueIjEvPT_PbS1_.num_named_barrier, 0
	.set _Z22testAtomicAdd_divValueIjEvPT_PbS1_.private_seg_size, 0
	.set _Z22testAtomicAdd_divValueIjEvPT_PbS1_.uses_vcc, 1
	.set _Z22testAtomicAdd_divValueIjEvPT_PbS1_.uses_flat_scratch, 0
	.set _Z22testAtomicAdd_divValueIjEvPT_PbS1_.has_dyn_sized_stack, 0
	.set _Z22testAtomicAdd_divValueIjEvPT_PbS1_.has_recursion, 0
	.set _Z22testAtomicAdd_divValueIjEvPT_PbS1_.has_indirect_call, 0
	.section	.AMDGPU.csdata,"",@progbits
; Kernel info:
; codeLenInByte = 204
; TotalNumSgprs: 13
; NumVgprs: 3
; ScratchSize: 0
; MemoryBound: 0
; FloatMode: 240
; IeeeMode: 1
; LDSByteSize: 0 bytes/workgroup (compile time only)
; SGPRBlocks: 1
; VGPRBlocks: 0
; NumSGPRsForWavesPerEU: 13
; NumVGPRsForWavesPerEU: 3
; Occupancy: 10
; WaveLimiterHint : 0
; COMPUTE_PGM_RSRC2:SCRATCH_EN: 0
; COMPUTE_PGM_RSRC2:USER_SGPR: 6
; COMPUTE_PGM_RSRC2:TRAP_HANDLER: 0
; COMPUTE_PGM_RSRC2:TGID_X_EN: 1
; COMPUTE_PGM_RSRC2:TGID_Y_EN: 0
; COMPUTE_PGM_RSRC2:TGID_Z_EN: 0
; COMPUTE_PGM_RSRC2:TIDIG_COMP_CNT: 0
	.section	.text._Z22testAtomicSub_divValueIjEvPT_PbS1_,"axG",@progbits,_Z22testAtomicSub_divValueIjEvPT_PbS1_,comdat
	.protected	_Z22testAtomicSub_divValueIjEvPT_PbS1_ ; -- Begin function _Z22testAtomicSub_divValueIjEvPT_PbS1_
	.globl	_Z22testAtomicSub_divValueIjEvPT_PbS1_
	.p2align	8
	.type	_Z22testAtomicSub_divValueIjEvPT_PbS1_,@function
_Z22testAtomicSub_divValueIjEvPT_PbS1_: ; @_Z22testAtomicSub_divValueIjEvPT_PbS1_
; %bb.0:
	s_load_dword s7, s[4:5], 0x24
	s_load_dwordx4 s[0:3], s[4:5], 0x0
	s_waitcnt lgkmcnt(0)
	s_and_b32 s7, s7, 0xffff
	s_mul_i32 s6, s6, s7
	v_add_u32_e32 v0, s6, v0
	global_load_ubyte v1, v0, s[2:3]
	s_waitcnt vmcnt(0)
	v_and_b32_e32 v1, 1, v1
	v_cmp_eq_u32_e32 vcc, 1, v1
	s_and_saveexec_b64 s[2:3], vcc
	s_cbranch_execz .LBB30_5
; %bb.1:
	s_load_dwordx2 s[4:5], s[4:5], 0x10
	v_mov_b32_e32 v1, 0
	v_lshlrev_b64 v[0:1], 2, v[0:1]
	s_mov_b64 s[2:3], exec
	s_waitcnt lgkmcnt(0)
	v_mov_b32_e32 v2, s5
	v_add_co_u32_e32 v0, vcc, s4, v0
	v_addc_co_u32_e32 v1, vcc, v2, v1, vcc
	global_load_dword v0, v[0:1], off
	s_mov_b32 s4, 0
	s_waitcnt vmcnt(0)
	v_sub_u32_e32 v0, 0, v0
.LBB30_2:                               ; =>This Inner Loop Header: Depth=1
	s_ff1_i32_b64 s5, s[2:3]
	v_readlane_b32 s8, v0, s5
	s_lshl_b64 s[6:7], 1, s5
	s_add_i32 s4, s4, s8
	s_andn2_b64 s[2:3], s[2:3], s[6:7]
	s_cmp_lg_u64 s[2:3], 0
	s_cbranch_scc1 .LBB30_2
; %bb.3:
	v_mbcnt_lo_u32_b32 v0, exec_lo, 0
	v_mbcnt_hi_u32_b32 v0, exec_hi, v0
	v_cmp_eq_u32_e32 vcc, 0, v0
	s_and_saveexec_b64 s[2:3], vcc
	s_xor_b64 s[2:3], exec, s[2:3]
	s_cbranch_execz .LBB30_5
; %bb.4:
	v_mov_b32_e32 v0, 0
	v_mov_b32_e32 v1, s4
	global_atomic_add v0, v1, s[0:1] offset:4
.LBB30_5:
	s_endpgm
	.section	.rodata,"a",@progbits
	.p2align	6, 0x0
	.amdhsa_kernel _Z22testAtomicSub_divValueIjEvPT_PbS1_
		.amdhsa_group_segment_fixed_size 0
		.amdhsa_private_segment_fixed_size 0
		.amdhsa_kernarg_size 280
		.amdhsa_user_sgpr_count 6
		.amdhsa_user_sgpr_private_segment_buffer 1
		.amdhsa_user_sgpr_dispatch_ptr 0
		.amdhsa_user_sgpr_queue_ptr 0
		.amdhsa_user_sgpr_kernarg_segment_ptr 1
		.amdhsa_user_sgpr_dispatch_id 0
		.amdhsa_user_sgpr_flat_scratch_init 0
		.amdhsa_user_sgpr_private_segment_size 0
		.amdhsa_uses_dynamic_stack 0
		.amdhsa_system_sgpr_private_segment_wavefront_offset 0
		.amdhsa_system_sgpr_workgroup_id_x 1
		.amdhsa_system_sgpr_workgroup_id_y 0
		.amdhsa_system_sgpr_workgroup_id_z 0
		.amdhsa_system_sgpr_workgroup_info 0
		.amdhsa_system_vgpr_workitem_id 0
		.amdhsa_next_free_vgpr 3
		.amdhsa_next_free_sgpr 9
		.amdhsa_reserve_vcc 1
		.amdhsa_reserve_flat_scratch 0
		.amdhsa_float_round_mode_32 0
		.amdhsa_float_round_mode_16_64 0
		.amdhsa_float_denorm_mode_32 3
		.amdhsa_float_denorm_mode_16_64 3
		.amdhsa_dx10_clamp 1
		.amdhsa_ieee_mode 1
		.amdhsa_fp16_overflow 0
		.amdhsa_exception_fp_ieee_invalid_op 0
		.amdhsa_exception_fp_denorm_src 0
		.amdhsa_exception_fp_ieee_div_zero 0
		.amdhsa_exception_fp_ieee_overflow 0
		.amdhsa_exception_fp_ieee_underflow 0
		.amdhsa_exception_fp_ieee_inexact 0
		.amdhsa_exception_int_div_zero 0
	.end_amdhsa_kernel
	.section	.text._Z22testAtomicSub_divValueIjEvPT_PbS1_,"axG",@progbits,_Z22testAtomicSub_divValueIjEvPT_PbS1_,comdat
.Lfunc_end30:
	.size	_Z22testAtomicSub_divValueIjEvPT_PbS1_, .Lfunc_end30-_Z22testAtomicSub_divValueIjEvPT_PbS1_
                                        ; -- End function
	.set _Z22testAtomicSub_divValueIjEvPT_PbS1_.num_vgpr, 3
	.set _Z22testAtomicSub_divValueIjEvPT_PbS1_.num_agpr, 0
	.set _Z22testAtomicSub_divValueIjEvPT_PbS1_.numbered_sgpr, 9
	.set _Z22testAtomicSub_divValueIjEvPT_PbS1_.num_named_barrier, 0
	.set _Z22testAtomicSub_divValueIjEvPT_PbS1_.private_seg_size, 0
	.set _Z22testAtomicSub_divValueIjEvPT_PbS1_.uses_vcc, 1
	.set _Z22testAtomicSub_divValueIjEvPT_PbS1_.uses_flat_scratch, 0
	.set _Z22testAtomicSub_divValueIjEvPT_PbS1_.has_dyn_sized_stack, 0
	.set _Z22testAtomicSub_divValueIjEvPT_PbS1_.has_recursion, 0
	.set _Z22testAtomicSub_divValueIjEvPT_PbS1_.has_indirect_call, 0
	.section	.AMDGPU.csdata,"",@progbits
; Kernel info:
; codeLenInByte = 208
; TotalNumSgprs: 13
; NumVgprs: 3
; ScratchSize: 0
; MemoryBound: 0
; FloatMode: 240
; IeeeMode: 1
; LDSByteSize: 0 bytes/workgroup (compile time only)
; SGPRBlocks: 1
; VGPRBlocks: 0
; NumSGPRsForWavesPerEU: 13
; NumVGPRsForWavesPerEU: 3
; Occupancy: 10
; WaveLimiterHint : 0
; COMPUTE_PGM_RSRC2:SCRATCH_EN: 0
; COMPUTE_PGM_RSRC2:USER_SGPR: 6
; COMPUTE_PGM_RSRC2:TRAP_HANDLER: 0
; COMPUTE_PGM_RSRC2:TGID_X_EN: 1
; COMPUTE_PGM_RSRC2:TGID_Y_EN: 0
; COMPUTE_PGM_RSRC2:TGID_Z_EN: 0
; COMPUTE_PGM_RSRC2:TIDIG_COMP_CNT: 0
	.section	.text._Z22testAtomicMax_divValueIjEvPT_PbS1_,"axG",@progbits,_Z22testAtomicMax_divValueIjEvPT_PbS1_,comdat
	.protected	_Z22testAtomicMax_divValueIjEvPT_PbS1_ ; -- Begin function _Z22testAtomicMax_divValueIjEvPT_PbS1_
	.globl	_Z22testAtomicMax_divValueIjEvPT_PbS1_
	.p2align	8
	.type	_Z22testAtomicMax_divValueIjEvPT_PbS1_,@function
_Z22testAtomicMax_divValueIjEvPT_PbS1_: ; @_Z22testAtomicMax_divValueIjEvPT_PbS1_
; %bb.0:
	s_load_dword s7, s[4:5], 0x24
	s_load_dwordx4 s[0:3], s[4:5], 0x0
	s_waitcnt lgkmcnt(0)
	s_and_b32 s7, s7, 0xffff
	s_mul_i32 s6, s6, s7
	v_add_u32_e32 v0, s6, v0
	global_load_ubyte v1, v0, s[2:3]
	s_waitcnt vmcnt(0)
	v_and_b32_e32 v1, 1, v1
	v_cmp_eq_u32_e32 vcc, 1, v1
	s_and_saveexec_b64 s[2:3], vcc
	s_cbranch_execz .LBB31_5
; %bb.1:
	s_load_dwordx2 s[4:5], s[4:5], 0x10
	v_mov_b32_e32 v1, 0
	v_lshlrev_b64 v[0:1], 2, v[0:1]
	s_mov_b64 s[2:3], exec
	s_waitcnt lgkmcnt(0)
	v_mov_b32_e32 v2, s5
	v_add_co_u32_e32 v0, vcc, s4, v0
	v_addc_co_u32_e32 v1, vcc, v2, v1, vcc
	global_load_dword v0, v[0:1], off
	s_mov_b32 s4, 0
.LBB31_2:                               ; =>This Inner Loop Header: Depth=1
	s_ff1_i32_b64 s5, s[2:3]
	s_waitcnt vmcnt(0)
	v_readlane_b32 s8, v0, s5
	s_lshl_b64 s[6:7], 1, s5
	s_max_u32 s4, s4, s8
	s_andn2_b64 s[2:3], s[2:3], s[6:7]
	s_cmp_lg_u64 s[2:3], 0
	s_cbranch_scc1 .LBB31_2
; %bb.3:
	v_mbcnt_lo_u32_b32 v0, exec_lo, 0
	v_mbcnt_hi_u32_b32 v0, exec_hi, v0
	v_cmp_eq_u32_e32 vcc, 0, v0
	s_and_saveexec_b64 s[2:3], vcc
	s_xor_b64 s[2:3], exec, s[2:3]
	s_cbranch_execz .LBB31_5
; %bb.4:
	v_mov_b32_e32 v0, 0
	v_mov_b32_e32 v1, s4
	global_atomic_umax v0, v1, s[0:1] offset:8
.LBB31_5:
	s_endpgm
	.section	.rodata,"a",@progbits
	.p2align	6, 0x0
	.amdhsa_kernel _Z22testAtomicMax_divValueIjEvPT_PbS1_
		.amdhsa_group_segment_fixed_size 0
		.amdhsa_private_segment_fixed_size 0
		.amdhsa_kernarg_size 280
		.amdhsa_user_sgpr_count 6
		.amdhsa_user_sgpr_private_segment_buffer 1
		.amdhsa_user_sgpr_dispatch_ptr 0
		.amdhsa_user_sgpr_queue_ptr 0
		.amdhsa_user_sgpr_kernarg_segment_ptr 1
		.amdhsa_user_sgpr_dispatch_id 0
		.amdhsa_user_sgpr_flat_scratch_init 0
		.amdhsa_user_sgpr_private_segment_size 0
		.amdhsa_uses_dynamic_stack 0
		.amdhsa_system_sgpr_private_segment_wavefront_offset 0
		.amdhsa_system_sgpr_workgroup_id_x 1
		.amdhsa_system_sgpr_workgroup_id_y 0
		.amdhsa_system_sgpr_workgroup_id_z 0
		.amdhsa_system_sgpr_workgroup_info 0
		.amdhsa_system_vgpr_workitem_id 0
		.amdhsa_next_free_vgpr 3
		.amdhsa_next_free_sgpr 9
		.amdhsa_reserve_vcc 1
		.amdhsa_reserve_flat_scratch 0
		.amdhsa_float_round_mode_32 0
		.amdhsa_float_round_mode_16_64 0
		.amdhsa_float_denorm_mode_32 3
		.amdhsa_float_denorm_mode_16_64 3
		.amdhsa_dx10_clamp 1
		.amdhsa_ieee_mode 1
		.amdhsa_fp16_overflow 0
		.amdhsa_exception_fp_ieee_invalid_op 0
		.amdhsa_exception_fp_denorm_src 0
		.amdhsa_exception_fp_ieee_div_zero 0
		.amdhsa_exception_fp_ieee_overflow 0
		.amdhsa_exception_fp_ieee_underflow 0
		.amdhsa_exception_fp_ieee_inexact 0
		.amdhsa_exception_int_div_zero 0
	.end_amdhsa_kernel
	.section	.text._Z22testAtomicMax_divValueIjEvPT_PbS1_,"axG",@progbits,_Z22testAtomicMax_divValueIjEvPT_PbS1_,comdat
.Lfunc_end31:
	.size	_Z22testAtomicMax_divValueIjEvPT_PbS1_, .Lfunc_end31-_Z22testAtomicMax_divValueIjEvPT_PbS1_
                                        ; -- End function
	.set _Z22testAtomicMax_divValueIjEvPT_PbS1_.num_vgpr, 3
	.set _Z22testAtomicMax_divValueIjEvPT_PbS1_.num_agpr, 0
	.set _Z22testAtomicMax_divValueIjEvPT_PbS1_.numbered_sgpr, 9
	.set _Z22testAtomicMax_divValueIjEvPT_PbS1_.num_named_barrier, 0
	.set _Z22testAtomicMax_divValueIjEvPT_PbS1_.private_seg_size, 0
	.set _Z22testAtomicMax_divValueIjEvPT_PbS1_.uses_vcc, 1
	.set _Z22testAtomicMax_divValueIjEvPT_PbS1_.uses_flat_scratch, 0
	.set _Z22testAtomicMax_divValueIjEvPT_PbS1_.has_dyn_sized_stack, 0
	.set _Z22testAtomicMax_divValueIjEvPT_PbS1_.has_recursion, 0
	.set _Z22testAtomicMax_divValueIjEvPT_PbS1_.has_indirect_call, 0
	.section	.AMDGPU.csdata,"",@progbits
; Kernel info:
; codeLenInByte = 204
; TotalNumSgprs: 13
; NumVgprs: 3
; ScratchSize: 0
; MemoryBound: 0
; FloatMode: 240
; IeeeMode: 1
; LDSByteSize: 0 bytes/workgroup (compile time only)
; SGPRBlocks: 1
; VGPRBlocks: 0
; NumSGPRsForWavesPerEU: 13
; NumVGPRsForWavesPerEU: 3
; Occupancy: 10
; WaveLimiterHint : 0
; COMPUTE_PGM_RSRC2:SCRATCH_EN: 0
; COMPUTE_PGM_RSRC2:USER_SGPR: 6
; COMPUTE_PGM_RSRC2:TRAP_HANDLER: 0
; COMPUTE_PGM_RSRC2:TGID_X_EN: 1
; COMPUTE_PGM_RSRC2:TGID_Y_EN: 0
; COMPUTE_PGM_RSRC2:TGID_Z_EN: 0
; COMPUTE_PGM_RSRC2:TIDIG_COMP_CNT: 0
	.section	.text._Z22testAtomicMin_divValueIjEvPT_PbS1_,"axG",@progbits,_Z22testAtomicMin_divValueIjEvPT_PbS1_,comdat
	.protected	_Z22testAtomicMin_divValueIjEvPT_PbS1_ ; -- Begin function _Z22testAtomicMin_divValueIjEvPT_PbS1_
	.globl	_Z22testAtomicMin_divValueIjEvPT_PbS1_
	.p2align	8
	.type	_Z22testAtomicMin_divValueIjEvPT_PbS1_,@function
_Z22testAtomicMin_divValueIjEvPT_PbS1_: ; @_Z22testAtomicMin_divValueIjEvPT_PbS1_
; %bb.0:
	s_load_dword s7, s[4:5], 0x24
	s_load_dwordx4 s[0:3], s[4:5], 0x0
	s_waitcnt lgkmcnt(0)
	s_and_b32 s7, s7, 0xffff
	s_mul_i32 s6, s6, s7
	v_add_u32_e32 v0, s6, v0
	global_load_ubyte v1, v0, s[2:3]
	s_waitcnt vmcnt(0)
	v_and_b32_e32 v1, 1, v1
	v_cmp_eq_u32_e32 vcc, 1, v1
	s_and_saveexec_b64 s[2:3], vcc
	s_cbranch_execz .LBB32_5
; %bb.1:
	s_load_dwordx2 s[4:5], s[4:5], 0x10
	v_mov_b32_e32 v1, 0
	v_lshlrev_b64 v[0:1], 2, v[0:1]
	s_mov_b64 s[2:3], exec
	s_waitcnt lgkmcnt(0)
	v_mov_b32_e32 v2, s5
	v_add_co_u32_e32 v0, vcc, s4, v0
	v_addc_co_u32_e32 v1, vcc, v2, v1, vcc
	global_load_dword v0, v[0:1], off
	s_mov_b32 s4, -1
.LBB32_2:                               ; =>This Inner Loop Header: Depth=1
	s_ff1_i32_b64 s5, s[2:3]
	s_waitcnt vmcnt(0)
	v_readlane_b32 s8, v0, s5
	s_lshl_b64 s[6:7], 1, s5
	s_min_u32 s4, s4, s8
	s_andn2_b64 s[2:3], s[2:3], s[6:7]
	s_cmp_lg_u64 s[2:3], 0
	s_cbranch_scc1 .LBB32_2
; %bb.3:
	v_mbcnt_lo_u32_b32 v0, exec_lo, 0
	v_mbcnt_hi_u32_b32 v0, exec_hi, v0
	v_cmp_eq_u32_e32 vcc, 0, v0
	s_and_saveexec_b64 s[2:3], vcc
	s_xor_b64 s[2:3], exec, s[2:3]
	s_cbranch_execz .LBB32_5
; %bb.4:
	v_mov_b32_e32 v0, 0
	v_mov_b32_e32 v1, s4
	global_atomic_umin v0, v1, s[0:1] offset:12
.LBB32_5:
	s_endpgm
	.section	.rodata,"a",@progbits
	.p2align	6, 0x0
	.amdhsa_kernel _Z22testAtomicMin_divValueIjEvPT_PbS1_
		.amdhsa_group_segment_fixed_size 0
		.amdhsa_private_segment_fixed_size 0
		.amdhsa_kernarg_size 280
		.amdhsa_user_sgpr_count 6
		.amdhsa_user_sgpr_private_segment_buffer 1
		.amdhsa_user_sgpr_dispatch_ptr 0
		.amdhsa_user_sgpr_queue_ptr 0
		.amdhsa_user_sgpr_kernarg_segment_ptr 1
		.amdhsa_user_sgpr_dispatch_id 0
		.amdhsa_user_sgpr_flat_scratch_init 0
		.amdhsa_user_sgpr_private_segment_size 0
		.amdhsa_uses_dynamic_stack 0
		.amdhsa_system_sgpr_private_segment_wavefront_offset 0
		.amdhsa_system_sgpr_workgroup_id_x 1
		.amdhsa_system_sgpr_workgroup_id_y 0
		.amdhsa_system_sgpr_workgroup_id_z 0
		.amdhsa_system_sgpr_workgroup_info 0
		.amdhsa_system_vgpr_workitem_id 0
		.amdhsa_next_free_vgpr 3
		.amdhsa_next_free_sgpr 9
		.amdhsa_reserve_vcc 1
		.amdhsa_reserve_flat_scratch 0
		.amdhsa_float_round_mode_32 0
		.amdhsa_float_round_mode_16_64 0
		.amdhsa_float_denorm_mode_32 3
		.amdhsa_float_denorm_mode_16_64 3
		.amdhsa_dx10_clamp 1
		.amdhsa_ieee_mode 1
		.amdhsa_fp16_overflow 0
		.amdhsa_exception_fp_ieee_invalid_op 0
		.amdhsa_exception_fp_denorm_src 0
		.amdhsa_exception_fp_ieee_div_zero 0
		.amdhsa_exception_fp_ieee_overflow 0
		.amdhsa_exception_fp_ieee_underflow 0
		.amdhsa_exception_fp_ieee_inexact 0
		.amdhsa_exception_int_div_zero 0
	.end_amdhsa_kernel
	.section	.text._Z22testAtomicMin_divValueIjEvPT_PbS1_,"axG",@progbits,_Z22testAtomicMin_divValueIjEvPT_PbS1_,comdat
.Lfunc_end32:
	.size	_Z22testAtomicMin_divValueIjEvPT_PbS1_, .Lfunc_end32-_Z22testAtomicMin_divValueIjEvPT_PbS1_
                                        ; -- End function
	.set _Z22testAtomicMin_divValueIjEvPT_PbS1_.num_vgpr, 3
	.set _Z22testAtomicMin_divValueIjEvPT_PbS1_.num_agpr, 0
	.set _Z22testAtomicMin_divValueIjEvPT_PbS1_.numbered_sgpr, 9
	.set _Z22testAtomicMin_divValueIjEvPT_PbS1_.num_named_barrier, 0
	.set _Z22testAtomicMin_divValueIjEvPT_PbS1_.private_seg_size, 0
	.set _Z22testAtomicMin_divValueIjEvPT_PbS1_.uses_vcc, 1
	.set _Z22testAtomicMin_divValueIjEvPT_PbS1_.uses_flat_scratch, 0
	.set _Z22testAtomicMin_divValueIjEvPT_PbS1_.has_dyn_sized_stack, 0
	.set _Z22testAtomicMin_divValueIjEvPT_PbS1_.has_recursion, 0
	.set _Z22testAtomicMin_divValueIjEvPT_PbS1_.has_indirect_call, 0
	.section	.AMDGPU.csdata,"",@progbits
; Kernel info:
; codeLenInByte = 204
; TotalNumSgprs: 13
; NumVgprs: 3
; ScratchSize: 0
; MemoryBound: 0
; FloatMode: 240
; IeeeMode: 1
; LDSByteSize: 0 bytes/workgroup (compile time only)
; SGPRBlocks: 1
; VGPRBlocks: 0
; NumSGPRsForWavesPerEU: 13
; NumVGPRsForWavesPerEU: 3
; Occupancy: 10
; WaveLimiterHint : 0
; COMPUTE_PGM_RSRC2:SCRATCH_EN: 0
; COMPUTE_PGM_RSRC2:USER_SGPR: 6
; COMPUTE_PGM_RSRC2:TRAP_HANDLER: 0
; COMPUTE_PGM_RSRC2:TGID_X_EN: 1
; COMPUTE_PGM_RSRC2:TGID_Y_EN: 0
; COMPUTE_PGM_RSRC2:TGID_Z_EN: 0
; COMPUTE_PGM_RSRC2:TIDIG_COMP_CNT: 0
	.section	.text._Z22testAtomicAnd_divValueIjEvPT_PbS1_,"axG",@progbits,_Z22testAtomicAnd_divValueIjEvPT_PbS1_,comdat
	.protected	_Z22testAtomicAnd_divValueIjEvPT_PbS1_ ; -- Begin function _Z22testAtomicAnd_divValueIjEvPT_PbS1_
	.globl	_Z22testAtomicAnd_divValueIjEvPT_PbS1_
	.p2align	8
	.type	_Z22testAtomicAnd_divValueIjEvPT_PbS1_,@function
_Z22testAtomicAnd_divValueIjEvPT_PbS1_: ; @_Z22testAtomicAnd_divValueIjEvPT_PbS1_
; %bb.0:
	s_load_dword s7, s[4:5], 0x24
	s_load_dwordx4 s[0:3], s[4:5], 0x0
	s_waitcnt lgkmcnt(0)
	s_and_b32 s7, s7, 0xffff
	s_mul_i32 s6, s6, s7
	v_add_u32_e32 v0, s6, v0
	global_load_ubyte v1, v0, s[2:3]
	s_waitcnt vmcnt(0)
	v_and_b32_e32 v1, 1, v1
	v_cmp_eq_u32_e32 vcc, 1, v1
	s_and_saveexec_b64 s[2:3], vcc
	s_cbranch_execz .LBB33_5
; %bb.1:
	s_load_dwordx2 s[4:5], s[4:5], 0x10
	v_mov_b32_e32 v1, 0
	v_lshlrev_b64 v[0:1], 2, v[0:1]
	s_mov_b64 s[2:3], exec
	s_waitcnt lgkmcnt(0)
	v_mov_b32_e32 v2, s5
	v_add_co_u32_e32 v0, vcc, s4, v0
	v_addc_co_u32_e32 v1, vcc, v2, v1, vcc
	global_load_dword v0, v[0:1], off
	s_mov_b32 s4, -1
	s_waitcnt vmcnt(0)
	v_lshlrev_b32_e64 v0, v0, 1
	v_not_b32_e32 v0, v0
.LBB33_2:                               ; =>This Inner Loop Header: Depth=1
	s_ff1_i32_b64 s5, s[2:3]
	v_readlane_b32 s8, v0, s5
	s_lshl_b64 s[6:7], 1, s5
	s_and_b32 s4, s4, s8
	s_andn2_b64 s[2:3], s[2:3], s[6:7]
	s_cmp_lg_u64 s[2:3], 0
	s_cbranch_scc1 .LBB33_2
; %bb.3:
	v_mbcnt_lo_u32_b32 v0, exec_lo, 0
	v_mbcnt_hi_u32_b32 v0, exec_hi, v0
	v_cmp_eq_u32_e32 vcc, 0, v0
	s_and_saveexec_b64 s[2:3], vcc
	s_xor_b64 s[2:3], exec, s[2:3]
	s_cbranch_execz .LBB33_5
; %bb.4:
	v_mov_b32_e32 v0, 0
	v_mov_b32_e32 v1, s4
	global_atomic_and v0, v1, s[0:1] offset:16
.LBB33_5:
	s_endpgm
	.section	.rodata,"a",@progbits
	.p2align	6, 0x0
	.amdhsa_kernel _Z22testAtomicAnd_divValueIjEvPT_PbS1_
		.amdhsa_group_segment_fixed_size 0
		.amdhsa_private_segment_fixed_size 0
		.amdhsa_kernarg_size 280
		.amdhsa_user_sgpr_count 6
		.amdhsa_user_sgpr_private_segment_buffer 1
		.amdhsa_user_sgpr_dispatch_ptr 0
		.amdhsa_user_sgpr_queue_ptr 0
		.amdhsa_user_sgpr_kernarg_segment_ptr 1
		.amdhsa_user_sgpr_dispatch_id 0
		.amdhsa_user_sgpr_flat_scratch_init 0
		.amdhsa_user_sgpr_private_segment_size 0
		.amdhsa_uses_dynamic_stack 0
		.amdhsa_system_sgpr_private_segment_wavefront_offset 0
		.amdhsa_system_sgpr_workgroup_id_x 1
		.amdhsa_system_sgpr_workgroup_id_y 0
		.amdhsa_system_sgpr_workgroup_id_z 0
		.amdhsa_system_sgpr_workgroup_info 0
		.amdhsa_system_vgpr_workitem_id 0
		.amdhsa_next_free_vgpr 3
		.amdhsa_next_free_sgpr 9
		.amdhsa_reserve_vcc 1
		.amdhsa_reserve_flat_scratch 0
		.amdhsa_float_round_mode_32 0
		.amdhsa_float_round_mode_16_64 0
		.amdhsa_float_denorm_mode_32 3
		.amdhsa_float_denorm_mode_16_64 3
		.amdhsa_dx10_clamp 1
		.amdhsa_ieee_mode 1
		.amdhsa_fp16_overflow 0
		.amdhsa_exception_fp_ieee_invalid_op 0
		.amdhsa_exception_fp_denorm_src 0
		.amdhsa_exception_fp_ieee_div_zero 0
		.amdhsa_exception_fp_ieee_overflow 0
		.amdhsa_exception_fp_ieee_underflow 0
		.amdhsa_exception_fp_ieee_inexact 0
		.amdhsa_exception_int_div_zero 0
	.end_amdhsa_kernel
	.section	.text._Z22testAtomicAnd_divValueIjEvPT_PbS1_,"axG",@progbits,_Z22testAtomicAnd_divValueIjEvPT_PbS1_,comdat
.Lfunc_end33:
	.size	_Z22testAtomicAnd_divValueIjEvPT_PbS1_, .Lfunc_end33-_Z22testAtomicAnd_divValueIjEvPT_PbS1_
                                        ; -- End function
	.set _Z22testAtomicAnd_divValueIjEvPT_PbS1_.num_vgpr, 3
	.set _Z22testAtomicAnd_divValueIjEvPT_PbS1_.num_agpr, 0
	.set _Z22testAtomicAnd_divValueIjEvPT_PbS1_.numbered_sgpr, 9
	.set _Z22testAtomicAnd_divValueIjEvPT_PbS1_.num_named_barrier, 0
	.set _Z22testAtomicAnd_divValueIjEvPT_PbS1_.private_seg_size, 0
	.set _Z22testAtomicAnd_divValueIjEvPT_PbS1_.uses_vcc, 1
	.set _Z22testAtomicAnd_divValueIjEvPT_PbS1_.uses_flat_scratch, 0
	.set _Z22testAtomicAnd_divValueIjEvPT_PbS1_.has_dyn_sized_stack, 0
	.set _Z22testAtomicAnd_divValueIjEvPT_PbS1_.has_recursion, 0
	.set _Z22testAtomicAnd_divValueIjEvPT_PbS1_.has_indirect_call, 0
	.section	.AMDGPU.csdata,"",@progbits
; Kernel info:
; codeLenInByte = 216
; TotalNumSgprs: 13
; NumVgprs: 3
; ScratchSize: 0
; MemoryBound: 0
; FloatMode: 240
; IeeeMode: 1
; LDSByteSize: 0 bytes/workgroup (compile time only)
; SGPRBlocks: 1
; VGPRBlocks: 0
; NumSGPRsForWavesPerEU: 13
; NumVGPRsForWavesPerEU: 3
; Occupancy: 10
; WaveLimiterHint : 0
; COMPUTE_PGM_RSRC2:SCRATCH_EN: 0
; COMPUTE_PGM_RSRC2:USER_SGPR: 6
; COMPUTE_PGM_RSRC2:TRAP_HANDLER: 0
; COMPUTE_PGM_RSRC2:TGID_X_EN: 1
; COMPUTE_PGM_RSRC2:TGID_Y_EN: 0
; COMPUTE_PGM_RSRC2:TGID_Z_EN: 0
; COMPUTE_PGM_RSRC2:TIDIG_COMP_CNT: 0
	.section	.text._Z21testAtomicOr_divValueIjEvPT_PbS1_,"axG",@progbits,_Z21testAtomicOr_divValueIjEvPT_PbS1_,comdat
	.protected	_Z21testAtomicOr_divValueIjEvPT_PbS1_ ; -- Begin function _Z21testAtomicOr_divValueIjEvPT_PbS1_
	.globl	_Z21testAtomicOr_divValueIjEvPT_PbS1_
	.p2align	8
	.type	_Z21testAtomicOr_divValueIjEvPT_PbS1_,@function
_Z21testAtomicOr_divValueIjEvPT_PbS1_:  ; @_Z21testAtomicOr_divValueIjEvPT_PbS1_
; %bb.0:
	s_load_dword s7, s[4:5], 0x24
	s_load_dwordx4 s[0:3], s[4:5], 0x0
	s_waitcnt lgkmcnt(0)
	s_and_b32 s7, s7, 0xffff
	s_mul_i32 s6, s6, s7
	v_add_u32_e32 v0, s6, v0
	global_load_ubyte v1, v0, s[2:3]
	s_waitcnt vmcnt(0)
	v_and_b32_e32 v1, 1, v1
	v_cmp_eq_u32_e32 vcc, 1, v1
	s_and_saveexec_b64 s[2:3], vcc
	s_cbranch_execz .LBB34_5
; %bb.1:
	s_load_dwordx2 s[4:5], s[4:5], 0x10
	v_mov_b32_e32 v1, 0
	v_lshlrev_b64 v[0:1], 2, v[0:1]
	s_mov_b64 s[2:3], exec
	s_waitcnt lgkmcnt(0)
	v_mov_b32_e32 v2, s5
	v_add_co_u32_e32 v0, vcc, s4, v0
	v_addc_co_u32_e32 v1, vcc, v2, v1, vcc
	global_load_dword v0, v[0:1], off
	s_mov_b32 s4, 0
	s_waitcnt vmcnt(0)
	v_lshlrev_b32_e64 v0, v0, 1
.LBB34_2:                               ; =>This Inner Loop Header: Depth=1
	s_ff1_i32_b64 s5, s[2:3]
	v_readlane_b32 s8, v0, s5
	s_lshl_b64 s[6:7], 1, s5
	s_or_b32 s4, s4, s8
	s_andn2_b64 s[2:3], s[2:3], s[6:7]
	s_cmp_lg_u64 s[2:3], 0
	s_cbranch_scc1 .LBB34_2
; %bb.3:
	v_mbcnt_lo_u32_b32 v0, exec_lo, 0
	v_mbcnt_hi_u32_b32 v0, exec_hi, v0
	v_cmp_eq_u32_e32 vcc, 0, v0
	s_and_saveexec_b64 s[2:3], vcc
	s_xor_b64 s[2:3], exec, s[2:3]
	s_cbranch_execz .LBB34_5
; %bb.4:
	v_mov_b32_e32 v0, 0
	v_mov_b32_e32 v1, s4
	global_atomic_or v0, v1, s[0:1] offset:20
.LBB34_5:
	s_endpgm
	.section	.rodata,"a",@progbits
	.p2align	6, 0x0
	.amdhsa_kernel _Z21testAtomicOr_divValueIjEvPT_PbS1_
		.amdhsa_group_segment_fixed_size 0
		.amdhsa_private_segment_fixed_size 0
		.amdhsa_kernarg_size 280
		.amdhsa_user_sgpr_count 6
		.amdhsa_user_sgpr_private_segment_buffer 1
		.amdhsa_user_sgpr_dispatch_ptr 0
		.amdhsa_user_sgpr_queue_ptr 0
		.amdhsa_user_sgpr_kernarg_segment_ptr 1
		.amdhsa_user_sgpr_dispatch_id 0
		.amdhsa_user_sgpr_flat_scratch_init 0
		.amdhsa_user_sgpr_private_segment_size 0
		.amdhsa_uses_dynamic_stack 0
		.amdhsa_system_sgpr_private_segment_wavefront_offset 0
		.amdhsa_system_sgpr_workgroup_id_x 1
		.amdhsa_system_sgpr_workgroup_id_y 0
		.amdhsa_system_sgpr_workgroup_id_z 0
		.amdhsa_system_sgpr_workgroup_info 0
		.amdhsa_system_vgpr_workitem_id 0
		.amdhsa_next_free_vgpr 3
		.amdhsa_next_free_sgpr 9
		.amdhsa_reserve_vcc 1
		.amdhsa_reserve_flat_scratch 0
		.amdhsa_float_round_mode_32 0
		.amdhsa_float_round_mode_16_64 0
		.amdhsa_float_denorm_mode_32 3
		.amdhsa_float_denorm_mode_16_64 3
		.amdhsa_dx10_clamp 1
		.amdhsa_ieee_mode 1
		.amdhsa_fp16_overflow 0
		.amdhsa_exception_fp_ieee_invalid_op 0
		.amdhsa_exception_fp_denorm_src 0
		.amdhsa_exception_fp_ieee_div_zero 0
		.amdhsa_exception_fp_ieee_overflow 0
		.amdhsa_exception_fp_ieee_underflow 0
		.amdhsa_exception_fp_ieee_inexact 0
		.amdhsa_exception_int_div_zero 0
	.end_amdhsa_kernel
	.section	.text._Z21testAtomicOr_divValueIjEvPT_PbS1_,"axG",@progbits,_Z21testAtomicOr_divValueIjEvPT_PbS1_,comdat
.Lfunc_end34:
	.size	_Z21testAtomicOr_divValueIjEvPT_PbS1_, .Lfunc_end34-_Z21testAtomicOr_divValueIjEvPT_PbS1_
                                        ; -- End function
	.set _Z21testAtomicOr_divValueIjEvPT_PbS1_.num_vgpr, 3
	.set _Z21testAtomicOr_divValueIjEvPT_PbS1_.num_agpr, 0
	.set _Z21testAtomicOr_divValueIjEvPT_PbS1_.numbered_sgpr, 9
	.set _Z21testAtomicOr_divValueIjEvPT_PbS1_.num_named_barrier, 0
	.set _Z21testAtomicOr_divValueIjEvPT_PbS1_.private_seg_size, 0
	.set _Z21testAtomicOr_divValueIjEvPT_PbS1_.uses_vcc, 1
	.set _Z21testAtomicOr_divValueIjEvPT_PbS1_.uses_flat_scratch, 0
	.set _Z21testAtomicOr_divValueIjEvPT_PbS1_.has_dyn_sized_stack, 0
	.set _Z21testAtomicOr_divValueIjEvPT_PbS1_.has_recursion, 0
	.set _Z21testAtomicOr_divValueIjEvPT_PbS1_.has_indirect_call, 0
	.section	.AMDGPU.csdata,"",@progbits
; Kernel info:
; codeLenInByte = 212
; TotalNumSgprs: 13
; NumVgprs: 3
; ScratchSize: 0
; MemoryBound: 0
; FloatMode: 240
; IeeeMode: 1
; LDSByteSize: 0 bytes/workgroup (compile time only)
; SGPRBlocks: 1
; VGPRBlocks: 0
; NumSGPRsForWavesPerEU: 13
; NumVGPRsForWavesPerEU: 3
; Occupancy: 10
; WaveLimiterHint : 0
; COMPUTE_PGM_RSRC2:SCRATCH_EN: 0
; COMPUTE_PGM_RSRC2:USER_SGPR: 6
; COMPUTE_PGM_RSRC2:TRAP_HANDLER: 0
; COMPUTE_PGM_RSRC2:TGID_X_EN: 1
; COMPUTE_PGM_RSRC2:TGID_Y_EN: 0
; COMPUTE_PGM_RSRC2:TGID_Z_EN: 0
; COMPUTE_PGM_RSRC2:TIDIG_COMP_CNT: 0
	.section	.text._Z22testAtomicXor_divValueIjEvPT_PbS1_,"axG",@progbits,_Z22testAtomicXor_divValueIjEvPT_PbS1_,comdat
	.protected	_Z22testAtomicXor_divValueIjEvPT_PbS1_ ; -- Begin function _Z22testAtomicXor_divValueIjEvPT_PbS1_
	.globl	_Z22testAtomicXor_divValueIjEvPT_PbS1_
	.p2align	8
	.type	_Z22testAtomicXor_divValueIjEvPT_PbS1_,@function
_Z22testAtomicXor_divValueIjEvPT_PbS1_: ; @_Z22testAtomicXor_divValueIjEvPT_PbS1_
; %bb.0:
	s_load_dword s7, s[4:5], 0x24
	s_load_dwordx4 s[0:3], s[4:5], 0x0
	s_waitcnt lgkmcnt(0)
	s_and_b32 s7, s7, 0xffff
	s_mul_i32 s6, s6, s7
	v_add_u32_e32 v0, s6, v0
	global_load_ubyte v1, v0, s[2:3]
	s_waitcnt vmcnt(0)
	v_and_b32_e32 v1, 1, v1
	v_cmp_eq_u32_e32 vcc, 1, v1
	s_and_saveexec_b64 s[2:3], vcc
	s_cbranch_execz .LBB35_5
; %bb.1:
	s_load_dwordx2 s[4:5], s[4:5], 0x10
	v_mov_b32_e32 v1, 0
	v_lshlrev_b64 v[0:1], 2, v[0:1]
	s_mov_b64 s[2:3], exec
	s_waitcnt lgkmcnt(0)
	v_mov_b32_e32 v2, s5
	v_add_co_u32_e32 v0, vcc, s4, v0
	v_addc_co_u32_e32 v1, vcc, v2, v1, vcc
	global_load_dword v0, v[0:1], off
	s_mov_b32 s4, 0
.LBB35_2:                               ; =>This Inner Loop Header: Depth=1
	s_ff1_i32_b64 s5, s[2:3]
	s_waitcnt vmcnt(0)
	v_readlane_b32 s8, v0, s5
	s_lshl_b64 s[6:7], 1, s5
	s_xor_b32 s4, s4, s8
	s_andn2_b64 s[2:3], s[2:3], s[6:7]
	s_cmp_lg_u64 s[2:3], 0
	s_cbranch_scc1 .LBB35_2
; %bb.3:
	v_mbcnt_lo_u32_b32 v0, exec_lo, 0
	v_mbcnt_hi_u32_b32 v0, exec_hi, v0
	v_cmp_eq_u32_e32 vcc, 0, v0
	s_and_saveexec_b64 s[2:3], vcc
	s_xor_b64 s[2:3], exec, s[2:3]
	s_cbranch_execz .LBB35_5
; %bb.4:
	v_mov_b32_e32 v0, 0
	v_mov_b32_e32 v1, s4
	global_atomic_xor v0, v1, s[0:1] offset:24
.LBB35_5:
	s_endpgm
	.section	.rodata,"a",@progbits
	.p2align	6, 0x0
	.amdhsa_kernel _Z22testAtomicXor_divValueIjEvPT_PbS1_
		.amdhsa_group_segment_fixed_size 0
		.amdhsa_private_segment_fixed_size 0
		.amdhsa_kernarg_size 280
		.amdhsa_user_sgpr_count 6
		.amdhsa_user_sgpr_private_segment_buffer 1
		.amdhsa_user_sgpr_dispatch_ptr 0
		.amdhsa_user_sgpr_queue_ptr 0
		.amdhsa_user_sgpr_kernarg_segment_ptr 1
		.amdhsa_user_sgpr_dispatch_id 0
		.amdhsa_user_sgpr_flat_scratch_init 0
		.amdhsa_user_sgpr_private_segment_size 0
		.amdhsa_uses_dynamic_stack 0
		.amdhsa_system_sgpr_private_segment_wavefront_offset 0
		.amdhsa_system_sgpr_workgroup_id_x 1
		.amdhsa_system_sgpr_workgroup_id_y 0
		.amdhsa_system_sgpr_workgroup_id_z 0
		.amdhsa_system_sgpr_workgroup_info 0
		.amdhsa_system_vgpr_workitem_id 0
		.amdhsa_next_free_vgpr 3
		.amdhsa_next_free_sgpr 9
		.amdhsa_reserve_vcc 1
		.amdhsa_reserve_flat_scratch 0
		.amdhsa_float_round_mode_32 0
		.amdhsa_float_round_mode_16_64 0
		.amdhsa_float_denorm_mode_32 3
		.amdhsa_float_denorm_mode_16_64 3
		.amdhsa_dx10_clamp 1
		.amdhsa_ieee_mode 1
		.amdhsa_fp16_overflow 0
		.amdhsa_exception_fp_ieee_invalid_op 0
		.amdhsa_exception_fp_denorm_src 0
		.amdhsa_exception_fp_ieee_div_zero 0
		.amdhsa_exception_fp_ieee_overflow 0
		.amdhsa_exception_fp_ieee_underflow 0
		.amdhsa_exception_fp_ieee_inexact 0
		.amdhsa_exception_int_div_zero 0
	.end_amdhsa_kernel
	.section	.text._Z22testAtomicXor_divValueIjEvPT_PbS1_,"axG",@progbits,_Z22testAtomicXor_divValueIjEvPT_PbS1_,comdat
.Lfunc_end35:
	.size	_Z22testAtomicXor_divValueIjEvPT_PbS1_, .Lfunc_end35-_Z22testAtomicXor_divValueIjEvPT_PbS1_
                                        ; -- End function
	.set _Z22testAtomicXor_divValueIjEvPT_PbS1_.num_vgpr, 3
	.set _Z22testAtomicXor_divValueIjEvPT_PbS1_.num_agpr, 0
	.set _Z22testAtomicXor_divValueIjEvPT_PbS1_.numbered_sgpr, 9
	.set _Z22testAtomicXor_divValueIjEvPT_PbS1_.num_named_barrier, 0
	.set _Z22testAtomicXor_divValueIjEvPT_PbS1_.private_seg_size, 0
	.set _Z22testAtomicXor_divValueIjEvPT_PbS1_.uses_vcc, 1
	.set _Z22testAtomicXor_divValueIjEvPT_PbS1_.uses_flat_scratch, 0
	.set _Z22testAtomicXor_divValueIjEvPT_PbS1_.has_dyn_sized_stack, 0
	.set _Z22testAtomicXor_divValueIjEvPT_PbS1_.has_recursion, 0
	.set _Z22testAtomicXor_divValueIjEvPT_PbS1_.has_indirect_call, 0
	.section	.AMDGPU.csdata,"",@progbits
; Kernel info:
; codeLenInByte = 204
; TotalNumSgprs: 13
; NumVgprs: 3
; ScratchSize: 0
; MemoryBound: 0
; FloatMode: 240
; IeeeMode: 1
; LDSByteSize: 0 bytes/workgroup (compile time only)
; SGPRBlocks: 1
; VGPRBlocks: 0
; NumSGPRsForWavesPerEU: 13
; NumVGPRsForWavesPerEU: 3
; Occupancy: 10
; WaveLimiterHint : 0
; COMPUTE_PGM_RSRC2:SCRATCH_EN: 0
; COMPUTE_PGM_RSRC2:USER_SGPR: 6
; COMPUTE_PGM_RSRC2:TRAP_HANDLER: 0
; COMPUTE_PGM_RSRC2:TGID_X_EN: 1
; COMPUTE_PGM_RSRC2:TGID_Y_EN: 0
; COMPUTE_PGM_RSRC2:TGID_Z_EN: 0
; COMPUTE_PGM_RSRC2:TIDIG_COMP_CNT: 0
	.section	.AMDGPU.gpr_maximums,"",@progbits
	.set amdgpu.max_num_vgpr, 0
	.set amdgpu.max_num_agpr, 0
	.set amdgpu.max_num_sgpr, 0
	.section	.AMDGPU.csdata,"",@progbits
	.protected	_ZN7InitialIiL8AtomicOp0EE5valueE ; @_ZN7InitialIiL8AtomicOp0EE5valueE
	.type	_ZN7InitialIiL8AtomicOp0EE5valueE,@object
	.section	.rodata,"a",@progbits
	.globl	_ZN7InitialIiL8AtomicOp0EE5valueE
	.p2align	2, 0x0
_ZN7InitialIiL8AtomicOp0EE5valueE:
	.long	0                               ; 0x0
	.size	_ZN7InitialIiL8AtomicOp0EE5valueE, 4

	.protected	_ZN7InitialIjL8AtomicOp0EE5valueE ; @_ZN7InitialIjL8AtomicOp0EE5valueE
	.type	_ZN7InitialIjL8AtomicOp0EE5valueE,@object
	.globl	_ZN7InitialIjL8AtomicOp0EE5valueE
	.p2align	2, 0x0
_ZN7InitialIjL8AtomicOp0EE5valueE:
	.long	0                               ; 0x0
	.size	_ZN7InitialIjL8AtomicOp0EE5valueE, 4

	.protected	_ZN7InitialIfL8AtomicOp0EE5valueE ; @_ZN7InitialIfL8AtomicOp0EE5valueE
	.type	_ZN7InitialIfL8AtomicOp0EE5valueE,@object
	.globl	_ZN7InitialIfL8AtomicOp0EE5valueE
	.p2align	2, 0x0
_ZN7InitialIfL8AtomicOp0EE5valueE:
	.long	0x00000000                      ; float 0
	.size	_ZN7InitialIfL8AtomicOp0EE5valueE, 4

	.protected	_ZN7InitialIiL8AtomicOp1EE5valueE ; @_ZN7InitialIiL8AtomicOp1EE5valueE
	.type	_ZN7InitialIiL8AtomicOp1EE5valueE,@object
	.globl	_ZN7InitialIiL8AtomicOp1EE5valueE
	.p2align	2, 0x0
_ZN7InitialIiL8AtomicOp1EE5valueE:
	.long	0                               ; 0x0
	.size	_ZN7InitialIiL8AtomicOp1EE5valueE, 4

	.protected	_ZN7InitialIjL8AtomicOp1EE5valueE ; @_ZN7InitialIjL8AtomicOp1EE5valueE
	.type	_ZN7InitialIjL8AtomicOp1EE5valueE,@object
	.globl	_ZN7InitialIjL8AtomicOp1EE5valueE
	.p2align	2, 0x0
_ZN7InitialIjL8AtomicOp1EE5valueE:
	.long	0                               ; 0x0
	.size	_ZN7InitialIjL8AtomicOp1EE5valueE, 4

	.protected	_ZN7InitialIfL8AtomicOp1EE5valueE ; @_ZN7InitialIfL8AtomicOp1EE5valueE
	.type	_ZN7InitialIfL8AtomicOp1EE5valueE,@object
	.globl	_ZN7InitialIfL8AtomicOp1EE5valueE
	.p2align	2, 0x0
_ZN7InitialIfL8AtomicOp1EE5valueE:
	.long	0x00000000                      ; float 0
	.size	_ZN7InitialIfL8AtomicOp1EE5valueE, 4

	.protected	_ZN7InitialIiL8AtomicOp3EE5valueE ; @_ZN7InitialIiL8AtomicOp3EE5valueE
	.type	_ZN7InitialIiL8AtomicOp3EE5valueE,@object
	.globl	_ZN7InitialIiL8AtomicOp3EE5valueE
	.p2align	2, 0x0
_ZN7InitialIiL8AtomicOp3EE5valueE:
	.long	2147483647                      ; 0x7fffffff
	.size	_ZN7InitialIiL8AtomicOp3EE5valueE, 4

	.protected	_ZN7InitialIjL8AtomicOp3EE5valueE ; @_ZN7InitialIjL8AtomicOp3EE5valueE
	.type	_ZN7InitialIjL8AtomicOp3EE5valueE,@object
	.globl	_ZN7InitialIjL8AtomicOp3EE5valueE
	.p2align	2, 0x0
_ZN7InitialIjL8AtomicOp3EE5valueE:
	.long	4294967295                      ; 0xffffffff
	.size	_ZN7InitialIjL8AtomicOp3EE5valueE, 4

	.protected	_ZN7InitialIfL8AtomicOp3EE5valueE ; @_ZN7InitialIfL8AtomicOp3EE5valueE
	.type	_ZN7InitialIfL8AtomicOp3EE5valueE,@object
	.globl	_ZN7InitialIfL8AtomicOp3EE5valueE
	.p2align	2, 0x0
_ZN7InitialIfL8AtomicOp3EE5valueE:
	.long	0x00800000                      ; float 1.17549435E-38
	.size	_ZN7InitialIfL8AtomicOp3EE5valueE, 4

	.protected	_ZN7InitialIiL8AtomicOp2EE5valueE ; @_ZN7InitialIiL8AtomicOp2EE5valueE
	.type	_ZN7InitialIiL8AtomicOp2EE5valueE,@object
	.globl	_ZN7InitialIiL8AtomicOp2EE5valueE
	.p2align	2, 0x0
_ZN7InitialIiL8AtomicOp2EE5valueE:
	.long	2147483648                      ; 0x80000000
	.size	_ZN7InitialIiL8AtomicOp2EE5valueE, 4

	.protected	_ZN7InitialIjL8AtomicOp2EE5valueE ; @_ZN7InitialIjL8AtomicOp2EE5valueE
	.type	_ZN7InitialIjL8AtomicOp2EE5valueE,@object
	.globl	_ZN7InitialIjL8AtomicOp2EE5valueE
	.p2align	2, 0x0
_ZN7InitialIjL8AtomicOp2EE5valueE:
	.long	0                               ; 0x0
	.size	_ZN7InitialIjL8AtomicOp2EE5valueE, 4

	.protected	_ZN7InitialIfL8AtomicOp2EE5valueE ; @_ZN7InitialIfL8AtomicOp2EE5valueE
	.type	_ZN7InitialIfL8AtomicOp2EE5valueE,@object
	.globl	_ZN7InitialIfL8AtomicOp2EE5valueE
	.p2align	2, 0x0
_ZN7InitialIfL8AtomicOp2EE5valueE:
	.long	0x7f7fffff                      ; float 3.40282347E+38
	.size	_ZN7InitialIfL8AtomicOp2EE5valueE, 4

	.protected	_ZN7InitialIiL8AtomicOp4EE5valueE ; @_ZN7InitialIiL8AtomicOp4EE5valueE
	.type	_ZN7InitialIiL8AtomicOp4EE5valueE,@object
	.globl	_ZN7InitialIiL8AtomicOp4EE5valueE
	.p2align	2, 0x0
_ZN7InitialIiL8AtomicOp4EE5valueE:
	.long	4294967295                      ; 0xffffffff
	.size	_ZN7InitialIiL8AtomicOp4EE5valueE, 4

	.protected	_ZN7InitialIjL8AtomicOp4EE5valueE ; @_ZN7InitialIjL8AtomicOp4EE5valueE
	.type	_ZN7InitialIjL8AtomicOp4EE5valueE,@object
	.globl	_ZN7InitialIjL8AtomicOp4EE5valueE
	.p2align	2, 0x0
_ZN7InitialIjL8AtomicOp4EE5valueE:
	.long	4294967295                      ; 0xffffffff
	.size	_ZN7InitialIjL8AtomicOp4EE5valueE, 4

	.protected	_ZN7InitialIiL8AtomicOp5EE5valueE ; @_ZN7InitialIiL8AtomicOp5EE5valueE
	.type	_ZN7InitialIiL8AtomicOp5EE5valueE,@object
	.globl	_ZN7InitialIiL8AtomicOp5EE5valueE
	.p2align	2, 0x0
_ZN7InitialIiL8AtomicOp5EE5valueE:
	.long	0                               ; 0x0
	.size	_ZN7InitialIiL8AtomicOp5EE5valueE, 4

	.protected	_ZN7InitialIjL8AtomicOp5EE5valueE ; @_ZN7InitialIjL8AtomicOp5EE5valueE
	.type	_ZN7InitialIjL8AtomicOp5EE5valueE,@object
	.globl	_ZN7InitialIjL8AtomicOp5EE5valueE
	.p2align	2, 0x0
_ZN7InitialIjL8AtomicOp5EE5valueE:
	.long	0                               ; 0x0
	.size	_ZN7InitialIjL8AtomicOp5EE5valueE, 4

	.protected	_ZN7InitialIiL8AtomicOp6EE5valueE ; @_ZN7InitialIiL8AtomicOp6EE5valueE
	.type	_ZN7InitialIiL8AtomicOp6EE5valueE,@object
	.globl	_ZN7InitialIiL8AtomicOp6EE5valueE
	.p2align	2, 0x0
_ZN7InitialIiL8AtomicOp6EE5valueE:
	.long	1515870810                      ; 0x5a5a5a5a
	.size	_ZN7InitialIiL8AtomicOp6EE5valueE, 4

	.protected	_ZN7InitialIjL8AtomicOp6EE5valueE ; @_ZN7InitialIjL8AtomicOp6EE5valueE
	.type	_ZN7InitialIjL8AtomicOp6EE5valueE,@object
	.globl	_ZN7InitialIjL8AtomicOp6EE5valueE
	.p2align	2, 0x0
_ZN7InitialIjL8AtomicOp6EE5valueE:
	.long	1515870810                      ; 0x5a5a5a5a
	.size	_ZN7InitialIjL8AtomicOp6EE5valueE, 4

	.protected	_ZN7UniformIiL8AtomicOp0EE5valueE ; @_ZN7UniformIiL8AtomicOp0EE5valueE
	.type	_ZN7UniformIiL8AtomicOp0EE5valueE,@object
	.globl	_ZN7UniformIiL8AtomicOp0EE5valueE
	.p2align	2, 0x0
_ZN7UniformIiL8AtomicOp0EE5valueE:
	.long	10                              ; 0xa
	.size	_ZN7UniformIiL8AtomicOp0EE5valueE, 4

	.protected	_ZN7UniformIjL8AtomicOp0EE5valueE ; @_ZN7UniformIjL8AtomicOp0EE5valueE
	.type	_ZN7UniformIjL8AtomicOp0EE5valueE,@object
	.globl	_ZN7UniformIjL8AtomicOp0EE5valueE
	.p2align	2, 0x0
_ZN7UniformIjL8AtomicOp0EE5valueE:
	.long	10                              ; 0xa
	.size	_ZN7UniformIjL8AtomicOp0EE5valueE, 4

	.protected	_ZN7UniformIfL8AtomicOp0EE5valueE ; @_ZN7UniformIfL8AtomicOp0EE5valueE
	.type	_ZN7UniformIfL8AtomicOp0EE5valueE,@object
	.globl	_ZN7UniformIfL8AtomicOp0EE5valueE
	.p2align	2, 0x0
_ZN7UniformIfL8AtomicOp0EE5valueE:
	.long	0x41200000                      ; float 10
	.size	_ZN7UniformIfL8AtomicOp0EE5valueE, 4

	.protected	_ZN7UniformIiL8AtomicOp1EE5valueE ; @_ZN7UniformIiL8AtomicOp1EE5valueE
	.type	_ZN7UniformIiL8AtomicOp1EE5valueE,@object
	.globl	_ZN7UniformIiL8AtomicOp1EE5valueE
	.p2align	2, 0x0
_ZN7UniformIiL8AtomicOp1EE5valueE:
	.long	10                              ; 0xa
	.size	_ZN7UniformIiL8AtomicOp1EE5valueE, 4

	.protected	_ZN7UniformIjL8AtomicOp1EE5valueE ; @_ZN7UniformIjL8AtomicOp1EE5valueE
	.type	_ZN7UniformIjL8AtomicOp1EE5valueE,@object
	.globl	_ZN7UniformIjL8AtomicOp1EE5valueE
	.p2align	2, 0x0
_ZN7UniformIjL8AtomicOp1EE5valueE:
	.long	10                              ; 0xa
	.size	_ZN7UniformIjL8AtomicOp1EE5valueE, 4

	.protected	_ZN7UniformIfL8AtomicOp1EE5valueE ; @_ZN7UniformIfL8AtomicOp1EE5valueE
	.type	_ZN7UniformIfL8AtomicOp1EE5valueE,@object
	.globl	_ZN7UniformIfL8AtomicOp1EE5valueE
	.p2align	2, 0x0
_ZN7UniformIfL8AtomicOp1EE5valueE:
	.long	0x41200000                      ; float 10
	.size	_ZN7UniformIfL8AtomicOp1EE5valueE, 4

	.protected	_ZN7UniformIiL8AtomicOp3EE5valueE ; @_ZN7UniformIiL8AtomicOp3EE5valueE
	.type	_ZN7UniformIiL8AtomicOp3EE5valueE,@object
	.globl	_ZN7UniformIiL8AtomicOp3EE5valueE
	.p2align	2, 0x0
_ZN7UniformIiL8AtomicOp3EE5valueE:
	.long	10                              ; 0xa
	.size	_ZN7UniformIiL8AtomicOp3EE5valueE, 4

	.protected	_ZN7UniformIjL8AtomicOp3EE5valueE ; @_ZN7UniformIjL8AtomicOp3EE5valueE
	.type	_ZN7UniformIjL8AtomicOp3EE5valueE,@object
	.globl	_ZN7UniformIjL8AtomicOp3EE5valueE
	.p2align	2, 0x0
_ZN7UniformIjL8AtomicOp3EE5valueE:
	.long	10                              ; 0xa
	.size	_ZN7UniformIjL8AtomicOp3EE5valueE, 4

	.protected	_ZN7UniformIfL8AtomicOp3EE5valueE ; @_ZN7UniformIfL8AtomicOp3EE5valueE
	.type	_ZN7UniformIfL8AtomicOp3EE5valueE,@object
	.globl	_ZN7UniformIfL8AtomicOp3EE5valueE
	.p2align	2, 0x0
_ZN7UniformIfL8AtomicOp3EE5valueE:
	.long	0x41200000                      ; float 10
	.size	_ZN7UniformIfL8AtomicOp3EE5valueE, 4

	.protected	_ZN7UniformIiL8AtomicOp2EE5valueE ; @_ZN7UniformIiL8AtomicOp2EE5valueE
	.type	_ZN7UniformIiL8AtomicOp2EE5valueE,@object
	.globl	_ZN7UniformIiL8AtomicOp2EE5valueE
	.p2align	2, 0x0
_ZN7UniformIiL8AtomicOp2EE5valueE:
	.long	10                              ; 0xa
	.size	_ZN7UniformIiL8AtomicOp2EE5valueE, 4

	.protected	_ZN7UniformIjL8AtomicOp2EE5valueE ; @_ZN7UniformIjL8AtomicOp2EE5valueE
	.type	_ZN7UniformIjL8AtomicOp2EE5valueE,@object
	.globl	_ZN7UniformIjL8AtomicOp2EE5valueE
	.p2align	2, 0x0
_ZN7UniformIjL8AtomicOp2EE5valueE:
	.long	10                              ; 0xa
	.size	_ZN7UniformIjL8AtomicOp2EE5valueE, 4

	.protected	_ZN7UniformIfL8AtomicOp2EE5valueE ; @_ZN7UniformIfL8AtomicOp2EE5valueE
	.type	_ZN7UniformIfL8AtomicOp2EE5valueE,@object
	.globl	_ZN7UniformIfL8AtomicOp2EE5valueE
	.p2align	2, 0x0
_ZN7UniformIfL8AtomicOp2EE5valueE:
	.long	0x41200000                      ; float 10
	.size	_ZN7UniformIfL8AtomicOp2EE5valueE, 4

	.protected	_ZN7UniformIiL8AtomicOp4EE5valueE ; @_ZN7UniformIiL8AtomicOp4EE5valueE
	.type	_ZN7UniformIiL8AtomicOp4EE5valueE,@object
	.globl	_ZN7UniformIiL8AtomicOp4EE5valueE
	.p2align	2, 0x0
_ZN7UniformIiL8AtomicOp4EE5valueE:
	.long	10                              ; 0xa
	.size	_ZN7UniformIiL8AtomicOp4EE5valueE, 4

	.protected	_ZN7UniformIjL8AtomicOp4EE5valueE ; @_ZN7UniformIjL8AtomicOp4EE5valueE
	.type	_ZN7UniformIjL8AtomicOp4EE5valueE,@object
	.globl	_ZN7UniformIjL8AtomicOp4EE5valueE
	.p2align	2, 0x0
_ZN7UniformIjL8AtomicOp4EE5valueE:
	.long	10                              ; 0xa
	.size	_ZN7UniformIjL8AtomicOp4EE5valueE, 4

	.protected	_ZN7UniformIiL8AtomicOp5EE5valueE ; @_ZN7UniformIiL8AtomicOp5EE5valueE
	.type	_ZN7UniformIiL8AtomicOp5EE5valueE,@object
	.globl	_ZN7UniformIiL8AtomicOp5EE5valueE
	.p2align	2, 0x0
_ZN7UniformIiL8AtomicOp5EE5valueE:
	.long	10                              ; 0xa
	.size	_ZN7UniformIiL8AtomicOp5EE5valueE, 4

	.protected	_ZN7UniformIjL8AtomicOp5EE5valueE ; @_ZN7UniformIjL8AtomicOp5EE5valueE
	.type	_ZN7UniformIjL8AtomicOp5EE5valueE,@object
	.globl	_ZN7UniformIjL8AtomicOp5EE5valueE
	.p2align	2, 0x0
_ZN7UniformIjL8AtomicOp5EE5valueE:
	.long	10                              ; 0xa
	.size	_ZN7UniformIjL8AtomicOp5EE5valueE, 4

	.protected	_ZN7UniformIiL8AtomicOp6EE5valueE ; @_ZN7UniformIiL8AtomicOp6EE5valueE
	.type	_ZN7UniformIiL8AtomicOp6EE5valueE,@object
	.globl	_ZN7UniformIiL8AtomicOp6EE5valueE
	.p2align	2, 0x0
_ZN7UniformIiL8AtomicOp6EE5valueE:
	.long	10                              ; 0xa
	.size	_ZN7UniformIiL8AtomicOp6EE5valueE, 4

	.protected	_ZN7UniformIjL8AtomicOp6EE5valueE ; @_ZN7UniformIjL8AtomicOp6EE5valueE
	.type	_ZN7UniformIjL8AtomicOp6EE5valueE,@object
	.globl	_ZN7UniformIjL8AtomicOp6EE5valueE
	.p2align	2, 0x0
_ZN7UniformIjL8AtomicOp6EE5valueE:
	.long	10                              ; 0xa
	.size	_ZN7UniformIjL8AtomicOp6EE5valueE, 4

	.type	__hip_cuid_3546abfd0fcf0917,@object ; @__hip_cuid_3546abfd0fcf0917
	.section	.bss,"aw",@nobits
	.globl	__hip_cuid_3546abfd0fcf0917
__hip_cuid_3546abfd0fcf0917:
	.byte	0                               ; 0x0
	.size	__hip_cuid_3546abfd0fcf0917, 1

	.ident	"AMD clang version 22.0.0git (https://github.com/RadeonOpenCompute/llvm-project roc-7.2.4 26084 f58b06dce1f9c15707c5f808fd002e18c2accf7e)"
	.section	".note.GNU-stack","",@progbits
	.addrsig
	.addrsig_sym _ZN7InitialIfL8AtomicOp0EE5valueE
	.addrsig_sym _ZN7InitialIfL8AtomicOp1EE5valueE
	.addrsig_sym _ZN7InitialIfL8AtomicOp3EE5valueE
	.addrsig_sym _ZN7InitialIfL8AtomicOp2EE5valueE
	.addrsig_sym _ZN7UniformIfL8AtomicOp0EE5valueE
	.addrsig_sym _ZN7UniformIfL8AtomicOp1EE5valueE
	.addrsig_sym _ZN7UniformIfL8AtomicOp3EE5valueE
	.addrsig_sym _ZN7UniformIfL8AtomicOp2EE5valueE
	.addrsig_sym __hip_cuid_3546abfd0fcf0917
	.amdgpu_metadata
---
amdhsa.kernels:
  - .args:
      - .address_space:  global
        .offset:         0
        .size:           8
        .value_kind:     global_buffer
      - .address_space:  global
        .offset:         8
        .size:           8
        .value_kind:     global_buffer
      - .offset:         16
        .size:           4
        .value_kind:     hidden_block_count_x
      - .offset:         20
        .size:           4
        .value_kind:     hidden_block_count_y
      - .offset:         24
        .size:           4
        .value_kind:     hidden_block_count_z
      - .offset:         28
        .size:           2
        .value_kind:     hidden_group_size_x
      - .offset:         30
        .size:           2
        .value_kind:     hidden_group_size_y
      - .offset:         32
        .size:           2
        .value_kind:     hidden_group_size_z
      - .offset:         34
        .size:           2
        .value_kind:     hidden_remainder_x
      - .offset:         36
        .size:           2
        .value_kind:     hidden_remainder_y
      - .offset:         38
        .size:           2
        .value_kind:     hidden_remainder_z
      - .offset:         56
        .size:           8
        .value_kind:     hidden_global_offset_x
      - .offset:         64
        .size:           8
        .value_kind:     hidden_global_offset_y
      - .offset:         72
        .size:           8
        .value_kind:     hidden_global_offset_z
      - .offset:         80
        .size:           2
        .value_kind:     hidden_grid_dims
    .group_segment_fixed_size: 0
    .kernarg_segment_align: 8
    .kernarg_segment_size: 272
    .language:       OpenCL C
    .language_version:
      - 2
      - 0
    .max_flat_workgroup_size: 1024
    .name:           _Z22testAtomicAdd_uniValueIfEvPT_Pb
    .private_segment_fixed_size: 0
    .sgpr_count:     12
    .sgpr_spill_count: 0
    .symbol:         _Z22testAtomicAdd_uniValueIfEvPT_Pb.kd
    .uniform_work_group_size: 1
    .uses_dynamic_stack: false
    .vgpr_count:     4
    .vgpr_spill_count: 0
    .wavefront_size: 64
  - .args:
      - .address_space:  global
        .offset:         0
        .size:           8
        .value_kind:     global_buffer
      - .address_space:  global
        .offset:         8
        .size:           8
        .value_kind:     global_buffer
      - .offset:         16
        .size:           4
        .value_kind:     hidden_block_count_x
      - .offset:         20
        .size:           4
        .value_kind:     hidden_block_count_y
      - .offset:         24
        .size:           4
        .value_kind:     hidden_block_count_z
      - .offset:         28
        .size:           2
        .value_kind:     hidden_group_size_x
      - .offset:         30
        .size:           2
        .value_kind:     hidden_group_size_y
      - .offset:         32
        .size:           2
        .value_kind:     hidden_group_size_z
      - .offset:         34
        .size:           2
        .value_kind:     hidden_remainder_x
      - .offset:         36
        .size:           2
        .value_kind:     hidden_remainder_y
      - .offset:         38
        .size:           2
        .value_kind:     hidden_remainder_z
      - .offset:         56
        .size:           8
        .value_kind:     hidden_global_offset_x
      - .offset:         64
        .size:           8
        .value_kind:     hidden_global_offset_y
      - .offset:         72
        .size:           8
        .value_kind:     hidden_global_offset_z
      - .offset:         80
        .size:           2
        .value_kind:     hidden_grid_dims
    .group_segment_fixed_size: 0
    .kernarg_segment_align: 8
    .kernarg_segment_size: 272
    .language:       OpenCL C
    .language_version:
      - 2
      - 0
    .max_flat_workgroup_size: 1024
    .name:           _Z22testAtomicSub_uniValueIfEvPT_Pb
    .private_segment_fixed_size: 0
    .sgpr_count:     12
    .sgpr_spill_count: 0
    .symbol:         _Z22testAtomicSub_uniValueIfEvPT_Pb.kd
    .uniform_work_group_size: 1
    .uses_dynamic_stack: false
    .vgpr_count:     4
    .vgpr_spill_count: 0
    .wavefront_size: 64
  - .args:
      - .address_space:  global
        .offset:         0
        .size:           8
        .value_kind:     global_buffer
      - .address_space:  global
        .offset:         8
        .size:           8
        .value_kind:     global_buffer
      - .offset:         16
        .size:           4
        .value_kind:     hidden_block_count_x
      - .offset:         20
        .size:           4
        .value_kind:     hidden_block_count_y
      - .offset:         24
        .size:           4
        .value_kind:     hidden_block_count_z
      - .offset:         28
        .size:           2
        .value_kind:     hidden_group_size_x
      - .offset:         30
        .size:           2
        .value_kind:     hidden_group_size_y
      - .offset:         32
        .size:           2
        .value_kind:     hidden_group_size_z
      - .offset:         34
        .size:           2
        .value_kind:     hidden_remainder_x
      - .offset:         36
        .size:           2
        .value_kind:     hidden_remainder_y
      - .offset:         38
        .size:           2
        .value_kind:     hidden_remainder_z
      - .offset:         56
        .size:           8
        .value_kind:     hidden_global_offset_x
      - .offset:         64
        .size:           8
        .value_kind:     hidden_global_offset_y
      - .offset:         72
        .size:           8
        .value_kind:     hidden_global_offset_z
      - .offset:         80
        .size:           2
        .value_kind:     hidden_grid_dims
    .group_segment_fixed_size: 0
    .kernarg_segment_align: 8
    .kernarg_segment_size: 272
    .language:       OpenCL C
    .language_version:
      - 2
      - 0
    .max_flat_workgroup_size: 1024
    .name:           _Z22testAtomicMax_uniValueIfEvPT_Pb
    .private_segment_fixed_size: 0
    .sgpr_count:     12
    .sgpr_spill_count: 0
    .symbol:         _Z22testAtomicMax_uniValueIfEvPT_Pb.kd
    .uniform_work_group_size: 1
    .uses_dynamic_stack: false
    .vgpr_count:     3
    .vgpr_spill_count: 0
    .wavefront_size: 64
  - .args:
      - .address_space:  global
        .offset:         0
        .size:           8
        .value_kind:     global_buffer
      - .address_space:  global
        .offset:         8
        .size:           8
        .value_kind:     global_buffer
      - .offset:         16
        .size:           4
        .value_kind:     hidden_block_count_x
      - .offset:         20
        .size:           4
        .value_kind:     hidden_block_count_y
      - .offset:         24
        .size:           4
        .value_kind:     hidden_block_count_z
      - .offset:         28
        .size:           2
        .value_kind:     hidden_group_size_x
      - .offset:         30
        .size:           2
        .value_kind:     hidden_group_size_y
      - .offset:         32
        .size:           2
        .value_kind:     hidden_group_size_z
      - .offset:         34
        .size:           2
        .value_kind:     hidden_remainder_x
      - .offset:         36
        .size:           2
        .value_kind:     hidden_remainder_y
      - .offset:         38
        .size:           2
        .value_kind:     hidden_remainder_z
      - .offset:         56
        .size:           8
        .value_kind:     hidden_global_offset_x
      - .offset:         64
        .size:           8
        .value_kind:     hidden_global_offset_y
      - .offset:         72
        .size:           8
        .value_kind:     hidden_global_offset_z
      - .offset:         80
        .size:           2
        .value_kind:     hidden_grid_dims
    .group_segment_fixed_size: 0
    .kernarg_segment_align: 8
    .kernarg_segment_size: 272
    .language:       OpenCL C
    .language_version:
      - 2
      - 0
    .max_flat_workgroup_size: 1024
    .name:           _Z22testAtomicMin_uniValueIfEvPT_Pb
    .private_segment_fixed_size: 0
    .sgpr_count:     12
    .sgpr_spill_count: 0
    .symbol:         _Z22testAtomicMin_uniValueIfEvPT_Pb.kd
    .uniform_work_group_size: 1
    .uses_dynamic_stack: false
    .vgpr_count:     3
    .vgpr_spill_count: 0
    .wavefront_size: 64
  - .args:
      - .address_space:  global
        .offset:         0
        .size:           8
        .value_kind:     global_buffer
      - .address_space:  global
        .offset:         8
        .size:           8
        .value_kind:     global_buffer
      - .address_space:  global
        .offset:         16
        .size:           8
        .value_kind:     global_buffer
      - .offset:         24
        .size:           4
        .value_kind:     hidden_block_count_x
      - .offset:         28
        .size:           4
        .value_kind:     hidden_block_count_y
      - .offset:         32
        .size:           4
        .value_kind:     hidden_block_count_z
      - .offset:         36
        .size:           2
        .value_kind:     hidden_group_size_x
      - .offset:         38
        .size:           2
        .value_kind:     hidden_group_size_y
      - .offset:         40
        .size:           2
        .value_kind:     hidden_group_size_z
      - .offset:         42
        .size:           2
        .value_kind:     hidden_remainder_x
      - .offset:         44
        .size:           2
        .value_kind:     hidden_remainder_y
      - .offset:         46
        .size:           2
        .value_kind:     hidden_remainder_z
      - .offset:         64
        .size:           8
        .value_kind:     hidden_global_offset_x
      - .offset:         72
        .size:           8
        .value_kind:     hidden_global_offset_y
      - .offset:         80
        .size:           8
        .value_kind:     hidden_global_offset_z
      - .offset:         88
        .size:           2
        .value_kind:     hidden_grid_dims
    .group_segment_fixed_size: 0
    .kernarg_segment_align: 8
    .kernarg_segment_size: 280
    .language:       OpenCL C
    .language_version:
      - 2
      - 0
    .max_flat_workgroup_size: 1024
    .name:           _Z22testAtomicAdd_divValueIfEvPT_PbS1_
    .private_segment_fixed_size: 0
    .sgpr_count:     12
    .sgpr_spill_count: 0
    .symbol:         _Z22testAtomicAdd_divValueIfEvPT_PbS1_.kd
    .uniform_work_group_size: 1
    .uses_dynamic_stack: false
    .vgpr_count:     4
    .vgpr_spill_count: 0
    .wavefront_size: 64
  - .args:
      - .address_space:  global
        .offset:         0
        .size:           8
        .value_kind:     global_buffer
      - .address_space:  global
        .offset:         8
        .size:           8
        .value_kind:     global_buffer
      - .address_space:  global
        .offset:         16
        .size:           8
        .value_kind:     global_buffer
      - .offset:         24
        .size:           4
        .value_kind:     hidden_block_count_x
      - .offset:         28
        .size:           4
        .value_kind:     hidden_block_count_y
      - .offset:         32
        .size:           4
        .value_kind:     hidden_block_count_z
      - .offset:         36
        .size:           2
        .value_kind:     hidden_group_size_x
      - .offset:         38
        .size:           2
        .value_kind:     hidden_group_size_y
      - .offset:         40
        .size:           2
        .value_kind:     hidden_group_size_z
      - .offset:         42
        .size:           2
        .value_kind:     hidden_remainder_x
      - .offset:         44
        .size:           2
        .value_kind:     hidden_remainder_y
      - .offset:         46
        .size:           2
        .value_kind:     hidden_remainder_z
      - .offset:         64
        .size:           8
        .value_kind:     hidden_global_offset_x
      - .offset:         72
        .size:           8
        .value_kind:     hidden_global_offset_y
      - .offset:         80
        .size:           8
        .value_kind:     hidden_global_offset_z
      - .offset:         88
        .size:           2
        .value_kind:     hidden_grid_dims
    .group_segment_fixed_size: 0
    .kernarg_segment_align: 8
    .kernarg_segment_size: 280
    .language:       OpenCL C
    .language_version:
      - 2
      - 0
    .max_flat_workgroup_size: 1024
    .name:           _Z22testAtomicSub_divValueIfEvPT_PbS1_
    .private_segment_fixed_size: 0
    .sgpr_count:     12
    .sgpr_spill_count: 0
    .symbol:         _Z22testAtomicSub_divValueIfEvPT_PbS1_.kd
    .uniform_work_group_size: 1
    .uses_dynamic_stack: false
    .vgpr_count:     4
    .vgpr_spill_count: 0
    .wavefront_size: 64
  - .args:
      - .address_space:  global
        .offset:         0
        .size:           8
        .value_kind:     global_buffer
      - .address_space:  global
        .offset:         8
        .size:           8
        .value_kind:     global_buffer
      - .address_space:  global
        .offset:         16
        .size:           8
        .value_kind:     global_buffer
      - .offset:         24
        .size:           4
        .value_kind:     hidden_block_count_x
      - .offset:         28
        .size:           4
        .value_kind:     hidden_block_count_y
      - .offset:         32
        .size:           4
        .value_kind:     hidden_block_count_z
      - .offset:         36
        .size:           2
        .value_kind:     hidden_group_size_x
      - .offset:         38
        .size:           2
        .value_kind:     hidden_group_size_y
      - .offset:         40
        .size:           2
        .value_kind:     hidden_group_size_z
      - .offset:         42
        .size:           2
        .value_kind:     hidden_remainder_x
      - .offset:         44
        .size:           2
        .value_kind:     hidden_remainder_y
      - .offset:         46
        .size:           2
        .value_kind:     hidden_remainder_z
      - .offset:         64
        .size:           8
        .value_kind:     hidden_global_offset_x
      - .offset:         72
        .size:           8
        .value_kind:     hidden_global_offset_y
      - .offset:         80
        .size:           8
        .value_kind:     hidden_global_offset_z
      - .offset:         88
        .size:           2
        .value_kind:     hidden_grid_dims
    .group_segment_fixed_size: 0
    .kernarg_segment_align: 8
    .kernarg_segment_size: 280
    .language:       OpenCL C
    .language_version:
      - 2
      - 0
    .max_flat_workgroup_size: 1024
    .name:           _Z22testAtomicMax_divValueIfEvPT_PbS1_
    .private_segment_fixed_size: 0
    .sgpr_count:     12
    .sgpr_spill_count: 0
    .symbol:         _Z22testAtomicMax_divValueIfEvPT_PbS1_.kd
    .uniform_work_group_size: 1
    .uses_dynamic_stack: false
    .vgpr_count:     4
    .vgpr_spill_count: 0
    .wavefront_size: 64
  - .args:
      - .address_space:  global
        .offset:         0
        .size:           8
        .value_kind:     global_buffer
      - .address_space:  global
        .offset:         8
        .size:           8
        .value_kind:     global_buffer
      - .address_space:  global
        .offset:         16
        .size:           8
        .value_kind:     global_buffer
      - .offset:         24
        .size:           4
        .value_kind:     hidden_block_count_x
      - .offset:         28
        .size:           4
        .value_kind:     hidden_block_count_y
      - .offset:         32
        .size:           4
        .value_kind:     hidden_block_count_z
      - .offset:         36
        .size:           2
        .value_kind:     hidden_group_size_x
      - .offset:         38
        .size:           2
        .value_kind:     hidden_group_size_y
      - .offset:         40
        .size:           2
        .value_kind:     hidden_group_size_z
      - .offset:         42
        .size:           2
        .value_kind:     hidden_remainder_x
      - .offset:         44
        .size:           2
        .value_kind:     hidden_remainder_y
      - .offset:         46
        .size:           2
        .value_kind:     hidden_remainder_z
      - .offset:         64
        .size:           8
        .value_kind:     hidden_global_offset_x
      - .offset:         72
        .size:           8
        .value_kind:     hidden_global_offset_y
      - .offset:         80
        .size:           8
        .value_kind:     hidden_global_offset_z
      - .offset:         88
        .size:           2
        .value_kind:     hidden_grid_dims
    .group_segment_fixed_size: 0
    .kernarg_segment_align: 8
    .kernarg_segment_size: 280
    .language:       OpenCL C
    .language_version:
      - 2
      - 0
    .max_flat_workgroup_size: 1024
    .name:           _Z22testAtomicMin_divValueIfEvPT_PbS1_
    .private_segment_fixed_size: 0
    .sgpr_count:     12
    .sgpr_spill_count: 0
    .symbol:         _Z22testAtomicMin_divValueIfEvPT_PbS1_.kd
    .uniform_work_group_size: 1
    .uses_dynamic_stack: false
    .vgpr_count:     4
    .vgpr_spill_count: 0
    .wavefront_size: 64
  - .args:
      - .address_space:  global
        .offset:         0
        .size:           8
        .value_kind:     global_buffer
      - .address_space:  global
        .offset:         8
        .size:           8
        .value_kind:     global_buffer
      - .offset:         16
        .size:           4
        .value_kind:     hidden_block_count_x
      - .offset:         20
        .size:           4
        .value_kind:     hidden_block_count_y
      - .offset:         24
        .size:           4
        .value_kind:     hidden_block_count_z
      - .offset:         28
        .size:           2
        .value_kind:     hidden_group_size_x
      - .offset:         30
        .size:           2
        .value_kind:     hidden_group_size_y
      - .offset:         32
        .size:           2
        .value_kind:     hidden_group_size_z
      - .offset:         34
        .size:           2
        .value_kind:     hidden_remainder_x
      - .offset:         36
        .size:           2
        .value_kind:     hidden_remainder_y
      - .offset:         38
        .size:           2
        .value_kind:     hidden_remainder_z
      - .offset:         56
        .size:           8
        .value_kind:     hidden_global_offset_x
      - .offset:         64
        .size:           8
        .value_kind:     hidden_global_offset_y
      - .offset:         72
        .size:           8
        .value_kind:     hidden_global_offset_z
      - .offset:         80
        .size:           2
        .value_kind:     hidden_grid_dims
    .group_segment_fixed_size: 0
    .kernarg_segment_align: 8
    .kernarg_segment_size: 272
    .language:       OpenCL C
    .language_version:
      - 2
      - 0
    .max_flat_workgroup_size: 1024
    .name:           _Z22testAtomicAdd_uniValueIiEvPT_Pb
    .private_segment_fixed_size: 0
    .sgpr_count:     12
    .sgpr_spill_count: 0
    .symbol:         _Z22testAtomicAdd_uniValueIiEvPT_Pb.kd
    .uniform_work_group_size: 1
    .uses_dynamic_stack: false
    .vgpr_count:     2
    .vgpr_spill_count: 0
    .wavefront_size: 64
  - .args:
      - .address_space:  global
        .offset:         0
        .size:           8
        .value_kind:     global_buffer
      - .address_space:  global
        .offset:         8
        .size:           8
        .value_kind:     global_buffer
      - .offset:         16
        .size:           4
        .value_kind:     hidden_block_count_x
      - .offset:         20
        .size:           4
        .value_kind:     hidden_block_count_y
      - .offset:         24
        .size:           4
        .value_kind:     hidden_block_count_z
      - .offset:         28
        .size:           2
        .value_kind:     hidden_group_size_x
      - .offset:         30
        .size:           2
        .value_kind:     hidden_group_size_y
      - .offset:         32
        .size:           2
        .value_kind:     hidden_group_size_z
      - .offset:         34
        .size:           2
        .value_kind:     hidden_remainder_x
      - .offset:         36
        .size:           2
        .value_kind:     hidden_remainder_y
      - .offset:         38
        .size:           2
        .value_kind:     hidden_remainder_z
      - .offset:         56
        .size:           8
        .value_kind:     hidden_global_offset_x
      - .offset:         64
        .size:           8
        .value_kind:     hidden_global_offset_y
      - .offset:         72
        .size:           8
        .value_kind:     hidden_global_offset_z
      - .offset:         80
        .size:           2
        .value_kind:     hidden_grid_dims
    .group_segment_fixed_size: 0
    .kernarg_segment_align: 8
    .kernarg_segment_size: 272
    .language:       OpenCL C
    .language_version:
      - 2
      - 0
    .max_flat_workgroup_size: 1024
    .name:           _Z22testAtomicSub_uniValueIiEvPT_Pb
    .private_segment_fixed_size: 0
    .sgpr_count:     12
    .sgpr_spill_count: 0
    .symbol:         _Z22testAtomicSub_uniValueIiEvPT_Pb.kd
    .uniform_work_group_size: 1
    .uses_dynamic_stack: false
    .vgpr_count:     2
    .vgpr_spill_count: 0
    .wavefront_size: 64
  - .args:
      - .address_space:  global
        .offset:         0
        .size:           8
        .value_kind:     global_buffer
      - .address_space:  global
        .offset:         8
        .size:           8
        .value_kind:     global_buffer
      - .offset:         16
        .size:           4
        .value_kind:     hidden_block_count_x
      - .offset:         20
        .size:           4
        .value_kind:     hidden_block_count_y
      - .offset:         24
        .size:           4
        .value_kind:     hidden_block_count_z
      - .offset:         28
        .size:           2
        .value_kind:     hidden_group_size_x
      - .offset:         30
        .size:           2
        .value_kind:     hidden_group_size_y
      - .offset:         32
        .size:           2
        .value_kind:     hidden_group_size_z
      - .offset:         34
        .size:           2
        .value_kind:     hidden_remainder_x
      - .offset:         36
        .size:           2
        .value_kind:     hidden_remainder_y
      - .offset:         38
        .size:           2
        .value_kind:     hidden_remainder_z
      - .offset:         56
        .size:           8
        .value_kind:     hidden_global_offset_x
      - .offset:         64
        .size:           8
        .value_kind:     hidden_global_offset_y
      - .offset:         72
        .size:           8
        .value_kind:     hidden_global_offset_z
      - .offset:         80
        .size:           2
        .value_kind:     hidden_grid_dims
    .group_segment_fixed_size: 0
    .kernarg_segment_align: 8
    .kernarg_segment_size: 272
    .language:       OpenCL C
    .language_version:
      - 2
      - 0
    .max_flat_workgroup_size: 1024
    .name:           _Z22testAtomicMax_uniValueIiEvPT_Pb
    .private_segment_fixed_size: 0
    .sgpr_count:     12
    .sgpr_spill_count: 0
    .symbol:         _Z22testAtomicMax_uniValueIiEvPT_Pb.kd
    .uniform_work_group_size: 1
    .uses_dynamic_stack: false
    .vgpr_count:     2
    .vgpr_spill_count: 0
    .wavefront_size: 64
  - .args:
      - .address_space:  global
        .offset:         0
        .size:           8
        .value_kind:     global_buffer
      - .address_space:  global
        .offset:         8
        .size:           8
        .value_kind:     global_buffer
      - .offset:         16
        .size:           4
        .value_kind:     hidden_block_count_x
      - .offset:         20
        .size:           4
        .value_kind:     hidden_block_count_y
      - .offset:         24
        .size:           4
        .value_kind:     hidden_block_count_z
      - .offset:         28
        .size:           2
        .value_kind:     hidden_group_size_x
      - .offset:         30
        .size:           2
        .value_kind:     hidden_group_size_y
      - .offset:         32
        .size:           2
        .value_kind:     hidden_group_size_z
      - .offset:         34
        .size:           2
        .value_kind:     hidden_remainder_x
      - .offset:         36
        .size:           2
        .value_kind:     hidden_remainder_y
      - .offset:         38
        .size:           2
        .value_kind:     hidden_remainder_z
      - .offset:         56
        .size:           8
        .value_kind:     hidden_global_offset_x
      - .offset:         64
        .size:           8
        .value_kind:     hidden_global_offset_y
      - .offset:         72
        .size:           8
        .value_kind:     hidden_global_offset_z
      - .offset:         80
        .size:           2
        .value_kind:     hidden_grid_dims
    .group_segment_fixed_size: 0
    .kernarg_segment_align: 8
    .kernarg_segment_size: 272
    .language:       OpenCL C
    .language_version:
      - 2
      - 0
    .max_flat_workgroup_size: 1024
    .name:           _Z22testAtomicMin_uniValueIiEvPT_Pb
    .private_segment_fixed_size: 0
    .sgpr_count:     12
    .sgpr_spill_count: 0
    .symbol:         _Z22testAtomicMin_uniValueIiEvPT_Pb.kd
    .uniform_work_group_size: 1
    .uses_dynamic_stack: false
    .vgpr_count:     2
    .vgpr_spill_count: 0
    .wavefront_size: 64
  - .args:
      - .address_space:  global
        .offset:         0
        .size:           8
        .value_kind:     global_buffer
      - .address_space:  global
        .offset:         8
        .size:           8
        .value_kind:     global_buffer
      - .offset:         16
        .size:           4
        .value_kind:     hidden_block_count_x
      - .offset:         20
        .size:           4
        .value_kind:     hidden_block_count_y
      - .offset:         24
        .size:           4
        .value_kind:     hidden_block_count_z
      - .offset:         28
        .size:           2
        .value_kind:     hidden_group_size_x
      - .offset:         30
        .size:           2
        .value_kind:     hidden_group_size_y
      - .offset:         32
        .size:           2
        .value_kind:     hidden_group_size_z
      - .offset:         34
        .size:           2
        .value_kind:     hidden_remainder_x
      - .offset:         36
        .size:           2
        .value_kind:     hidden_remainder_y
      - .offset:         38
        .size:           2
        .value_kind:     hidden_remainder_z
      - .offset:         56
        .size:           8
        .value_kind:     hidden_global_offset_x
      - .offset:         64
        .size:           8
        .value_kind:     hidden_global_offset_y
      - .offset:         72
        .size:           8
        .value_kind:     hidden_global_offset_z
      - .offset:         80
        .size:           2
        .value_kind:     hidden_grid_dims
    .group_segment_fixed_size: 0
    .kernarg_segment_align: 8
    .kernarg_segment_size: 272
    .language:       OpenCL C
    .language_version:
      - 2
      - 0
    .max_flat_workgroup_size: 1024
    .name:           _Z22testAtomicAnd_uniValueIiEvPT_Pb
    .private_segment_fixed_size: 0
    .sgpr_count:     12
    .sgpr_spill_count: 0
    .symbol:         _Z22testAtomicAnd_uniValueIiEvPT_Pb.kd
    .uniform_work_group_size: 1
    .uses_dynamic_stack: false
    .vgpr_count:     2
    .vgpr_spill_count: 0
    .wavefront_size: 64
  - .args:
      - .address_space:  global
        .offset:         0
        .size:           8
        .value_kind:     global_buffer
      - .address_space:  global
        .offset:         8
        .size:           8
        .value_kind:     global_buffer
      - .offset:         16
        .size:           4
        .value_kind:     hidden_block_count_x
      - .offset:         20
        .size:           4
        .value_kind:     hidden_block_count_y
      - .offset:         24
        .size:           4
        .value_kind:     hidden_block_count_z
      - .offset:         28
        .size:           2
        .value_kind:     hidden_group_size_x
      - .offset:         30
        .size:           2
        .value_kind:     hidden_group_size_y
      - .offset:         32
        .size:           2
        .value_kind:     hidden_group_size_z
      - .offset:         34
        .size:           2
        .value_kind:     hidden_remainder_x
      - .offset:         36
        .size:           2
        .value_kind:     hidden_remainder_y
      - .offset:         38
        .size:           2
        .value_kind:     hidden_remainder_z
      - .offset:         56
        .size:           8
        .value_kind:     hidden_global_offset_x
      - .offset:         64
        .size:           8
        .value_kind:     hidden_global_offset_y
      - .offset:         72
        .size:           8
        .value_kind:     hidden_global_offset_z
      - .offset:         80
        .size:           2
        .value_kind:     hidden_grid_dims
    .group_segment_fixed_size: 0
    .kernarg_segment_align: 8
    .kernarg_segment_size: 272
    .language:       OpenCL C
    .language_version:
      - 2
      - 0
    .max_flat_workgroup_size: 1024
    .name:           _Z21testAtomicOr_uniValueIiEvPT_Pb
    .private_segment_fixed_size: 0
    .sgpr_count:     12
    .sgpr_spill_count: 0
    .symbol:         _Z21testAtomicOr_uniValueIiEvPT_Pb.kd
    .uniform_work_group_size: 1
    .uses_dynamic_stack: false
    .vgpr_count:     2
    .vgpr_spill_count: 0
    .wavefront_size: 64
  - .args:
      - .address_space:  global
        .offset:         0
        .size:           8
        .value_kind:     global_buffer
      - .address_space:  global
        .offset:         8
        .size:           8
        .value_kind:     global_buffer
      - .offset:         16
        .size:           4
        .value_kind:     hidden_block_count_x
      - .offset:         20
        .size:           4
        .value_kind:     hidden_block_count_y
      - .offset:         24
        .size:           4
        .value_kind:     hidden_block_count_z
      - .offset:         28
        .size:           2
        .value_kind:     hidden_group_size_x
      - .offset:         30
        .size:           2
        .value_kind:     hidden_group_size_y
      - .offset:         32
        .size:           2
        .value_kind:     hidden_group_size_z
      - .offset:         34
        .size:           2
        .value_kind:     hidden_remainder_x
      - .offset:         36
        .size:           2
        .value_kind:     hidden_remainder_y
      - .offset:         38
        .size:           2
        .value_kind:     hidden_remainder_z
      - .offset:         56
        .size:           8
        .value_kind:     hidden_global_offset_x
      - .offset:         64
        .size:           8
        .value_kind:     hidden_global_offset_y
      - .offset:         72
        .size:           8
        .value_kind:     hidden_global_offset_z
      - .offset:         80
        .size:           2
        .value_kind:     hidden_grid_dims
    .group_segment_fixed_size: 0
    .kernarg_segment_align: 8
    .kernarg_segment_size: 272
    .language:       OpenCL C
    .language_version:
      - 2
      - 0
    .max_flat_workgroup_size: 1024
    .name:           _Z22testAtomicXor_uniValueIiEvPT_Pb
    .private_segment_fixed_size: 0
    .sgpr_count:     12
    .sgpr_spill_count: 0
    .symbol:         _Z22testAtomicXor_uniValueIiEvPT_Pb.kd
    .uniform_work_group_size: 1
    .uses_dynamic_stack: false
    .vgpr_count:     2
    .vgpr_spill_count: 0
    .wavefront_size: 64
  - .args:
      - .address_space:  global
        .offset:         0
        .size:           8
        .value_kind:     global_buffer
      - .address_space:  global
        .offset:         8
        .size:           8
        .value_kind:     global_buffer
      - .offset:         16
        .size:           4
        .value_kind:     hidden_block_count_x
      - .offset:         20
        .size:           4
        .value_kind:     hidden_block_count_y
      - .offset:         24
        .size:           4
        .value_kind:     hidden_block_count_z
      - .offset:         28
        .size:           2
        .value_kind:     hidden_group_size_x
      - .offset:         30
        .size:           2
        .value_kind:     hidden_group_size_y
      - .offset:         32
        .size:           2
        .value_kind:     hidden_group_size_z
      - .offset:         34
        .size:           2
        .value_kind:     hidden_remainder_x
      - .offset:         36
        .size:           2
        .value_kind:     hidden_remainder_y
      - .offset:         38
        .size:           2
        .value_kind:     hidden_remainder_z
      - .offset:         56
        .size:           8
        .value_kind:     hidden_global_offset_x
      - .offset:         64
        .size:           8
        .value_kind:     hidden_global_offset_y
      - .offset:         72
        .size:           8
        .value_kind:     hidden_global_offset_z
      - .offset:         80
        .size:           2
        .value_kind:     hidden_grid_dims
    .group_segment_fixed_size: 0
    .kernarg_segment_align: 8
    .kernarg_segment_size: 272
    .language:       OpenCL C
    .language_version:
      - 2
      - 0
    .max_flat_workgroup_size: 1024
    .name:           _Z22testAtomicAdd_uniValueIjEvPT_Pb
    .private_segment_fixed_size: 0
    .sgpr_count:     12
    .sgpr_spill_count: 0
    .symbol:         _Z22testAtomicAdd_uniValueIjEvPT_Pb.kd
    .uniform_work_group_size: 1
    .uses_dynamic_stack: false
    .vgpr_count:     2
    .vgpr_spill_count: 0
    .wavefront_size: 64
  - .args:
      - .address_space:  global
        .offset:         0
        .size:           8
        .value_kind:     global_buffer
      - .address_space:  global
        .offset:         8
        .size:           8
        .value_kind:     global_buffer
      - .offset:         16
        .size:           4
        .value_kind:     hidden_block_count_x
      - .offset:         20
        .size:           4
        .value_kind:     hidden_block_count_y
      - .offset:         24
        .size:           4
        .value_kind:     hidden_block_count_z
      - .offset:         28
        .size:           2
        .value_kind:     hidden_group_size_x
      - .offset:         30
        .size:           2
        .value_kind:     hidden_group_size_y
      - .offset:         32
        .size:           2
        .value_kind:     hidden_group_size_z
      - .offset:         34
        .size:           2
        .value_kind:     hidden_remainder_x
      - .offset:         36
        .size:           2
        .value_kind:     hidden_remainder_y
      - .offset:         38
        .size:           2
        .value_kind:     hidden_remainder_z
      - .offset:         56
        .size:           8
        .value_kind:     hidden_global_offset_x
      - .offset:         64
        .size:           8
        .value_kind:     hidden_global_offset_y
      - .offset:         72
        .size:           8
        .value_kind:     hidden_global_offset_z
      - .offset:         80
        .size:           2
        .value_kind:     hidden_grid_dims
    .group_segment_fixed_size: 0
    .kernarg_segment_align: 8
    .kernarg_segment_size: 272
    .language:       OpenCL C
    .language_version:
      - 2
      - 0
    .max_flat_workgroup_size: 1024
    .name:           _Z22testAtomicSub_uniValueIjEvPT_Pb
    .private_segment_fixed_size: 0
    .sgpr_count:     12
    .sgpr_spill_count: 0
    .symbol:         _Z22testAtomicSub_uniValueIjEvPT_Pb.kd
    .uniform_work_group_size: 1
    .uses_dynamic_stack: false
    .vgpr_count:     2
    .vgpr_spill_count: 0
    .wavefront_size: 64
  - .args:
      - .address_space:  global
        .offset:         0
        .size:           8
        .value_kind:     global_buffer
      - .address_space:  global
        .offset:         8
        .size:           8
        .value_kind:     global_buffer
      - .offset:         16
        .size:           4
        .value_kind:     hidden_block_count_x
      - .offset:         20
        .size:           4
        .value_kind:     hidden_block_count_y
      - .offset:         24
        .size:           4
        .value_kind:     hidden_block_count_z
      - .offset:         28
        .size:           2
        .value_kind:     hidden_group_size_x
      - .offset:         30
        .size:           2
        .value_kind:     hidden_group_size_y
      - .offset:         32
        .size:           2
        .value_kind:     hidden_group_size_z
      - .offset:         34
        .size:           2
        .value_kind:     hidden_remainder_x
      - .offset:         36
        .size:           2
        .value_kind:     hidden_remainder_y
      - .offset:         38
        .size:           2
        .value_kind:     hidden_remainder_z
      - .offset:         56
        .size:           8
        .value_kind:     hidden_global_offset_x
      - .offset:         64
        .size:           8
        .value_kind:     hidden_global_offset_y
      - .offset:         72
        .size:           8
        .value_kind:     hidden_global_offset_z
      - .offset:         80
        .size:           2
        .value_kind:     hidden_grid_dims
    .group_segment_fixed_size: 0
    .kernarg_segment_align: 8
    .kernarg_segment_size: 272
    .language:       OpenCL C
    .language_version:
      - 2
      - 0
    .max_flat_workgroup_size: 1024
    .name:           _Z22testAtomicMax_uniValueIjEvPT_Pb
    .private_segment_fixed_size: 0
    .sgpr_count:     12
    .sgpr_spill_count: 0
    .symbol:         _Z22testAtomicMax_uniValueIjEvPT_Pb.kd
    .uniform_work_group_size: 1
    .uses_dynamic_stack: false
    .vgpr_count:     2
    .vgpr_spill_count: 0
    .wavefront_size: 64
  - .args:
      - .address_space:  global
        .offset:         0
        .size:           8
        .value_kind:     global_buffer
      - .address_space:  global
        .offset:         8
        .size:           8
        .value_kind:     global_buffer
      - .offset:         16
        .size:           4
        .value_kind:     hidden_block_count_x
      - .offset:         20
        .size:           4
        .value_kind:     hidden_block_count_y
      - .offset:         24
        .size:           4
        .value_kind:     hidden_block_count_z
      - .offset:         28
        .size:           2
        .value_kind:     hidden_group_size_x
      - .offset:         30
        .size:           2
        .value_kind:     hidden_group_size_y
      - .offset:         32
        .size:           2
        .value_kind:     hidden_group_size_z
      - .offset:         34
        .size:           2
        .value_kind:     hidden_remainder_x
      - .offset:         36
        .size:           2
        .value_kind:     hidden_remainder_y
      - .offset:         38
        .size:           2
        .value_kind:     hidden_remainder_z
      - .offset:         56
        .size:           8
        .value_kind:     hidden_global_offset_x
      - .offset:         64
        .size:           8
        .value_kind:     hidden_global_offset_y
      - .offset:         72
        .size:           8
        .value_kind:     hidden_global_offset_z
      - .offset:         80
        .size:           2
        .value_kind:     hidden_grid_dims
    .group_segment_fixed_size: 0
    .kernarg_segment_align: 8
    .kernarg_segment_size: 272
    .language:       OpenCL C
    .language_version:
      - 2
      - 0
    .max_flat_workgroup_size: 1024
    .name:           _Z22testAtomicMin_uniValueIjEvPT_Pb
    .private_segment_fixed_size: 0
    .sgpr_count:     12
    .sgpr_spill_count: 0
    .symbol:         _Z22testAtomicMin_uniValueIjEvPT_Pb.kd
    .uniform_work_group_size: 1
    .uses_dynamic_stack: false
    .vgpr_count:     2
    .vgpr_spill_count: 0
    .wavefront_size: 64
  - .args:
      - .address_space:  global
        .offset:         0
        .size:           8
        .value_kind:     global_buffer
      - .address_space:  global
        .offset:         8
        .size:           8
        .value_kind:     global_buffer
      - .offset:         16
        .size:           4
        .value_kind:     hidden_block_count_x
      - .offset:         20
        .size:           4
        .value_kind:     hidden_block_count_y
      - .offset:         24
        .size:           4
        .value_kind:     hidden_block_count_z
      - .offset:         28
        .size:           2
        .value_kind:     hidden_group_size_x
      - .offset:         30
        .size:           2
        .value_kind:     hidden_group_size_y
      - .offset:         32
        .size:           2
        .value_kind:     hidden_group_size_z
      - .offset:         34
        .size:           2
        .value_kind:     hidden_remainder_x
      - .offset:         36
        .size:           2
        .value_kind:     hidden_remainder_y
      - .offset:         38
        .size:           2
        .value_kind:     hidden_remainder_z
      - .offset:         56
        .size:           8
        .value_kind:     hidden_global_offset_x
      - .offset:         64
        .size:           8
        .value_kind:     hidden_global_offset_y
      - .offset:         72
        .size:           8
        .value_kind:     hidden_global_offset_z
      - .offset:         80
        .size:           2
        .value_kind:     hidden_grid_dims
    .group_segment_fixed_size: 0
    .kernarg_segment_align: 8
    .kernarg_segment_size: 272
    .language:       OpenCL C
    .language_version:
      - 2
      - 0
    .max_flat_workgroup_size: 1024
    .name:           _Z22testAtomicAnd_uniValueIjEvPT_Pb
    .private_segment_fixed_size: 0
    .sgpr_count:     12
    .sgpr_spill_count: 0
    .symbol:         _Z22testAtomicAnd_uniValueIjEvPT_Pb.kd
    .uniform_work_group_size: 1
    .uses_dynamic_stack: false
    .vgpr_count:     2
    .vgpr_spill_count: 0
    .wavefront_size: 64
  - .args:
      - .address_space:  global
        .offset:         0
        .size:           8
        .value_kind:     global_buffer
      - .address_space:  global
        .offset:         8
        .size:           8
        .value_kind:     global_buffer
      - .offset:         16
        .size:           4
        .value_kind:     hidden_block_count_x
      - .offset:         20
        .size:           4
        .value_kind:     hidden_block_count_y
      - .offset:         24
        .size:           4
        .value_kind:     hidden_block_count_z
      - .offset:         28
        .size:           2
        .value_kind:     hidden_group_size_x
      - .offset:         30
        .size:           2
        .value_kind:     hidden_group_size_y
      - .offset:         32
        .size:           2
        .value_kind:     hidden_group_size_z
      - .offset:         34
        .size:           2
        .value_kind:     hidden_remainder_x
      - .offset:         36
        .size:           2
        .value_kind:     hidden_remainder_y
      - .offset:         38
        .size:           2
        .value_kind:     hidden_remainder_z
      - .offset:         56
        .size:           8
        .value_kind:     hidden_global_offset_x
      - .offset:         64
        .size:           8
        .value_kind:     hidden_global_offset_y
      - .offset:         72
        .size:           8
        .value_kind:     hidden_global_offset_z
      - .offset:         80
        .size:           2
        .value_kind:     hidden_grid_dims
    .group_segment_fixed_size: 0
    .kernarg_segment_align: 8
    .kernarg_segment_size: 272
    .language:       OpenCL C
    .language_version:
      - 2
      - 0
    .max_flat_workgroup_size: 1024
    .name:           _Z21testAtomicOr_uniValueIjEvPT_Pb
    .private_segment_fixed_size: 0
    .sgpr_count:     12
    .sgpr_spill_count: 0
    .symbol:         _Z21testAtomicOr_uniValueIjEvPT_Pb.kd
    .uniform_work_group_size: 1
    .uses_dynamic_stack: false
    .vgpr_count:     2
    .vgpr_spill_count: 0
    .wavefront_size: 64
  - .args:
      - .address_space:  global
        .offset:         0
        .size:           8
        .value_kind:     global_buffer
      - .address_space:  global
        .offset:         8
        .size:           8
        .value_kind:     global_buffer
      - .offset:         16
        .size:           4
        .value_kind:     hidden_block_count_x
      - .offset:         20
        .size:           4
        .value_kind:     hidden_block_count_y
      - .offset:         24
        .size:           4
        .value_kind:     hidden_block_count_z
      - .offset:         28
        .size:           2
        .value_kind:     hidden_group_size_x
      - .offset:         30
        .size:           2
        .value_kind:     hidden_group_size_y
      - .offset:         32
        .size:           2
        .value_kind:     hidden_group_size_z
      - .offset:         34
        .size:           2
        .value_kind:     hidden_remainder_x
      - .offset:         36
        .size:           2
        .value_kind:     hidden_remainder_y
      - .offset:         38
        .size:           2
        .value_kind:     hidden_remainder_z
      - .offset:         56
        .size:           8
        .value_kind:     hidden_global_offset_x
      - .offset:         64
        .size:           8
        .value_kind:     hidden_global_offset_y
      - .offset:         72
        .size:           8
        .value_kind:     hidden_global_offset_z
      - .offset:         80
        .size:           2
        .value_kind:     hidden_grid_dims
    .group_segment_fixed_size: 0
    .kernarg_segment_align: 8
    .kernarg_segment_size: 272
    .language:       OpenCL C
    .language_version:
      - 2
      - 0
    .max_flat_workgroup_size: 1024
    .name:           _Z22testAtomicXor_uniValueIjEvPT_Pb
    .private_segment_fixed_size: 0
    .sgpr_count:     12
    .sgpr_spill_count: 0
    .symbol:         _Z22testAtomicXor_uniValueIjEvPT_Pb.kd
    .uniform_work_group_size: 1
    .uses_dynamic_stack: false
    .vgpr_count:     2
    .vgpr_spill_count: 0
    .wavefront_size: 64
  - .args:
      - .address_space:  global
        .offset:         0
        .size:           8
        .value_kind:     global_buffer
      - .address_space:  global
        .offset:         8
        .size:           8
        .value_kind:     global_buffer
      - .address_space:  global
        .offset:         16
        .size:           8
        .value_kind:     global_buffer
      - .offset:         24
        .size:           4
        .value_kind:     hidden_block_count_x
      - .offset:         28
        .size:           4
        .value_kind:     hidden_block_count_y
      - .offset:         32
        .size:           4
        .value_kind:     hidden_block_count_z
      - .offset:         36
        .size:           2
        .value_kind:     hidden_group_size_x
      - .offset:         38
        .size:           2
        .value_kind:     hidden_group_size_y
      - .offset:         40
        .size:           2
        .value_kind:     hidden_group_size_z
      - .offset:         42
        .size:           2
        .value_kind:     hidden_remainder_x
      - .offset:         44
        .size:           2
        .value_kind:     hidden_remainder_y
      - .offset:         46
        .size:           2
        .value_kind:     hidden_remainder_z
      - .offset:         64
        .size:           8
        .value_kind:     hidden_global_offset_x
      - .offset:         72
        .size:           8
        .value_kind:     hidden_global_offset_y
      - .offset:         80
        .size:           8
        .value_kind:     hidden_global_offset_z
      - .offset:         88
        .size:           2
        .value_kind:     hidden_grid_dims
    .group_segment_fixed_size: 0
    .kernarg_segment_align: 8
    .kernarg_segment_size: 280
    .language:       OpenCL C
    .language_version:
      - 2
      - 0
    .max_flat_workgroup_size: 1024
    .name:           _Z22testAtomicAdd_divValueIiEvPT_PbS1_
    .private_segment_fixed_size: 0
    .sgpr_count:     13
    .sgpr_spill_count: 0
    .symbol:         _Z22testAtomicAdd_divValueIiEvPT_PbS1_.kd
    .uniform_work_group_size: 1
    .uses_dynamic_stack: false
    .vgpr_count:     3
    .vgpr_spill_count: 0
    .wavefront_size: 64
  - .args:
      - .address_space:  global
        .offset:         0
        .size:           8
        .value_kind:     global_buffer
      - .address_space:  global
        .offset:         8
        .size:           8
        .value_kind:     global_buffer
      - .address_space:  global
        .offset:         16
        .size:           8
        .value_kind:     global_buffer
      - .offset:         24
        .size:           4
        .value_kind:     hidden_block_count_x
      - .offset:         28
        .size:           4
        .value_kind:     hidden_block_count_y
      - .offset:         32
        .size:           4
        .value_kind:     hidden_block_count_z
      - .offset:         36
        .size:           2
        .value_kind:     hidden_group_size_x
      - .offset:         38
        .size:           2
        .value_kind:     hidden_group_size_y
      - .offset:         40
        .size:           2
        .value_kind:     hidden_group_size_z
      - .offset:         42
        .size:           2
        .value_kind:     hidden_remainder_x
      - .offset:         44
        .size:           2
        .value_kind:     hidden_remainder_y
      - .offset:         46
        .size:           2
        .value_kind:     hidden_remainder_z
      - .offset:         64
        .size:           8
        .value_kind:     hidden_global_offset_x
      - .offset:         72
        .size:           8
        .value_kind:     hidden_global_offset_y
      - .offset:         80
        .size:           8
        .value_kind:     hidden_global_offset_z
      - .offset:         88
        .size:           2
        .value_kind:     hidden_grid_dims
    .group_segment_fixed_size: 0
    .kernarg_segment_align: 8
    .kernarg_segment_size: 280
    .language:       OpenCL C
    .language_version:
      - 2
      - 0
    .max_flat_workgroup_size: 1024
    .name:           _Z22testAtomicSub_divValueIiEvPT_PbS1_
    .private_segment_fixed_size: 0
    .sgpr_count:     13
    .sgpr_spill_count: 0
    .symbol:         _Z22testAtomicSub_divValueIiEvPT_PbS1_.kd
    .uniform_work_group_size: 1
    .uses_dynamic_stack: false
    .vgpr_count:     3
    .vgpr_spill_count: 0
    .wavefront_size: 64
  - .args:
      - .address_space:  global
        .offset:         0
        .size:           8
        .value_kind:     global_buffer
      - .address_space:  global
        .offset:         8
        .size:           8
        .value_kind:     global_buffer
      - .address_space:  global
        .offset:         16
        .size:           8
        .value_kind:     global_buffer
      - .offset:         24
        .size:           4
        .value_kind:     hidden_block_count_x
      - .offset:         28
        .size:           4
        .value_kind:     hidden_block_count_y
      - .offset:         32
        .size:           4
        .value_kind:     hidden_block_count_z
      - .offset:         36
        .size:           2
        .value_kind:     hidden_group_size_x
      - .offset:         38
        .size:           2
        .value_kind:     hidden_group_size_y
      - .offset:         40
        .size:           2
        .value_kind:     hidden_group_size_z
      - .offset:         42
        .size:           2
        .value_kind:     hidden_remainder_x
      - .offset:         44
        .size:           2
        .value_kind:     hidden_remainder_y
      - .offset:         46
        .size:           2
        .value_kind:     hidden_remainder_z
      - .offset:         64
        .size:           8
        .value_kind:     hidden_global_offset_x
      - .offset:         72
        .size:           8
        .value_kind:     hidden_global_offset_y
      - .offset:         80
        .size:           8
        .value_kind:     hidden_global_offset_z
      - .offset:         88
        .size:           2
        .value_kind:     hidden_grid_dims
    .group_segment_fixed_size: 0
    .kernarg_segment_align: 8
    .kernarg_segment_size: 280
    .language:       OpenCL C
    .language_version:
      - 2
      - 0
    .max_flat_workgroup_size: 1024
    .name:           _Z22testAtomicMax_divValueIiEvPT_PbS1_
    .private_segment_fixed_size: 0
    .sgpr_count:     13
    .sgpr_spill_count: 0
    .symbol:         _Z22testAtomicMax_divValueIiEvPT_PbS1_.kd
    .uniform_work_group_size: 1
    .uses_dynamic_stack: false
    .vgpr_count:     3
    .vgpr_spill_count: 0
    .wavefront_size: 64
  - .args:
      - .address_space:  global
        .offset:         0
        .size:           8
        .value_kind:     global_buffer
      - .address_space:  global
        .offset:         8
        .size:           8
        .value_kind:     global_buffer
      - .address_space:  global
        .offset:         16
        .size:           8
        .value_kind:     global_buffer
      - .offset:         24
        .size:           4
        .value_kind:     hidden_block_count_x
      - .offset:         28
        .size:           4
        .value_kind:     hidden_block_count_y
      - .offset:         32
        .size:           4
        .value_kind:     hidden_block_count_z
      - .offset:         36
        .size:           2
        .value_kind:     hidden_group_size_x
      - .offset:         38
        .size:           2
        .value_kind:     hidden_group_size_y
      - .offset:         40
        .size:           2
        .value_kind:     hidden_group_size_z
      - .offset:         42
        .size:           2
        .value_kind:     hidden_remainder_x
      - .offset:         44
        .size:           2
        .value_kind:     hidden_remainder_y
      - .offset:         46
        .size:           2
        .value_kind:     hidden_remainder_z
      - .offset:         64
        .size:           8
        .value_kind:     hidden_global_offset_x
      - .offset:         72
        .size:           8
        .value_kind:     hidden_global_offset_y
      - .offset:         80
        .size:           8
        .value_kind:     hidden_global_offset_z
      - .offset:         88
        .size:           2
        .value_kind:     hidden_grid_dims
    .group_segment_fixed_size: 0
    .kernarg_segment_align: 8
    .kernarg_segment_size: 280
    .language:       OpenCL C
    .language_version:
      - 2
      - 0
    .max_flat_workgroup_size: 1024
    .name:           _Z22testAtomicMin_divValueIiEvPT_PbS1_
    .private_segment_fixed_size: 0
    .sgpr_count:     13
    .sgpr_spill_count: 0
    .symbol:         _Z22testAtomicMin_divValueIiEvPT_PbS1_.kd
    .uniform_work_group_size: 1
    .uses_dynamic_stack: false
    .vgpr_count:     3
    .vgpr_spill_count: 0
    .wavefront_size: 64
  - .args:
      - .address_space:  global
        .offset:         0
        .size:           8
        .value_kind:     global_buffer
      - .address_space:  global
        .offset:         8
        .size:           8
        .value_kind:     global_buffer
      - .address_space:  global
        .offset:         16
        .size:           8
        .value_kind:     global_buffer
      - .offset:         24
        .size:           4
        .value_kind:     hidden_block_count_x
      - .offset:         28
        .size:           4
        .value_kind:     hidden_block_count_y
      - .offset:         32
        .size:           4
        .value_kind:     hidden_block_count_z
      - .offset:         36
        .size:           2
        .value_kind:     hidden_group_size_x
      - .offset:         38
        .size:           2
        .value_kind:     hidden_group_size_y
      - .offset:         40
        .size:           2
        .value_kind:     hidden_group_size_z
      - .offset:         42
        .size:           2
        .value_kind:     hidden_remainder_x
      - .offset:         44
        .size:           2
        .value_kind:     hidden_remainder_y
      - .offset:         46
        .size:           2
        .value_kind:     hidden_remainder_z
      - .offset:         64
        .size:           8
        .value_kind:     hidden_global_offset_x
      - .offset:         72
        .size:           8
        .value_kind:     hidden_global_offset_y
      - .offset:         80
        .size:           8
        .value_kind:     hidden_global_offset_z
      - .offset:         88
        .size:           2
        .value_kind:     hidden_grid_dims
    .group_segment_fixed_size: 0
    .kernarg_segment_align: 8
    .kernarg_segment_size: 280
    .language:       OpenCL C
    .language_version:
      - 2
      - 0
    .max_flat_workgroup_size: 1024
    .name:           _Z22testAtomicAnd_divValueIiEvPT_PbS1_
    .private_segment_fixed_size: 0
    .sgpr_count:     13
    .sgpr_spill_count: 0
    .symbol:         _Z22testAtomicAnd_divValueIiEvPT_PbS1_.kd
    .uniform_work_group_size: 1
    .uses_dynamic_stack: false
    .vgpr_count:     3
    .vgpr_spill_count: 0
    .wavefront_size: 64
  - .args:
      - .address_space:  global
        .offset:         0
        .size:           8
        .value_kind:     global_buffer
      - .address_space:  global
        .offset:         8
        .size:           8
        .value_kind:     global_buffer
      - .address_space:  global
        .offset:         16
        .size:           8
        .value_kind:     global_buffer
      - .offset:         24
        .size:           4
        .value_kind:     hidden_block_count_x
      - .offset:         28
        .size:           4
        .value_kind:     hidden_block_count_y
      - .offset:         32
        .size:           4
        .value_kind:     hidden_block_count_z
      - .offset:         36
        .size:           2
        .value_kind:     hidden_group_size_x
      - .offset:         38
        .size:           2
        .value_kind:     hidden_group_size_y
      - .offset:         40
        .size:           2
        .value_kind:     hidden_group_size_z
      - .offset:         42
        .size:           2
        .value_kind:     hidden_remainder_x
      - .offset:         44
        .size:           2
        .value_kind:     hidden_remainder_y
      - .offset:         46
        .size:           2
        .value_kind:     hidden_remainder_z
      - .offset:         64
        .size:           8
        .value_kind:     hidden_global_offset_x
      - .offset:         72
        .size:           8
        .value_kind:     hidden_global_offset_y
      - .offset:         80
        .size:           8
        .value_kind:     hidden_global_offset_z
      - .offset:         88
        .size:           2
        .value_kind:     hidden_grid_dims
    .group_segment_fixed_size: 0
    .kernarg_segment_align: 8
    .kernarg_segment_size: 280
    .language:       OpenCL C
    .language_version:
      - 2
      - 0
    .max_flat_workgroup_size: 1024
    .name:           _Z21testAtomicOr_divValueIiEvPT_PbS1_
    .private_segment_fixed_size: 0
    .sgpr_count:     13
    .sgpr_spill_count: 0
    .symbol:         _Z21testAtomicOr_divValueIiEvPT_PbS1_.kd
    .uniform_work_group_size: 1
    .uses_dynamic_stack: false
    .vgpr_count:     3
    .vgpr_spill_count: 0
    .wavefront_size: 64
  - .args:
      - .address_space:  global
        .offset:         0
        .size:           8
        .value_kind:     global_buffer
      - .address_space:  global
        .offset:         8
        .size:           8
        .value_kind:     global_buffer
      - .address_space:  global
        .offset:         16
        .size:           8
        .value_kind:     global_buffer
      - .offset:         24
        .size:           4
        .value_kind:     hidden_block_count_x
      - .offset:         28
        .size:           4
        .value_kind:     hidden_block_count_y
      - .offset:         32
        .size:           4
        .value_kind:     hidden_block_count_z
      - .offset:         36
        .size:           2
        .value_kind:     hidden_group_size_x
      - .offset:         38
        .size:           2
        .value_kind:     hidden_group_size_y
      - .offset:         40
        .size:           2
        .value_kind:     hidden_group_size_z
      - .offset:         42
        .size:           2
        .value_kind:     hidden_remainder_x
      - .offset:         44
        .size:           2
        .value_kind:     hidden_remainder_y
      - .offset:         46
        .size:           2
        .value_kind:     hidden_remainder_z
      - .offset:         64
        .size:           8
        .value_kind:     hidden_global_offset_x
      - .offset:         72
        .size:           8
        .value_kind:     hidden_global_offset_y
      - .offset:         80
        .size:           8
        .value_kind:     hidden_global_offset_z
      - .offset:         88
        .size:           2
        .value_kind:     hidden_grid_dims
    .group_segment_fixed_size: 0
    .kernarg_segment_align: 8
    .kernarg_segment_size: 280
    .language:       OpenCL C
    .language_version:
      - 2
      - 0
    .max_flat_workgroup_size: 1024
    .name:           _Z22testAtomicXor_divValueIiEvPT_PbS1_
    .private_segment_fixed_size: 0
    .sgpr_count:     13
    .sgpr_spill_count: 0
    .symbol:         _Z22testAtomicXor_divValueIiEvPT_PbS1_.kd
    .uniform_work_group_size: 1
    .uses_dynamic_stack: false
    .vgpr_count:     3
    .vgpr_spill_count: 0
    .wavefront_size: 64
  - .args:
      - .address_space:  global
        .offset:         0
        .size:           8
        .value_kind:     global_buffer
      - .address_space:  global
        .offset:         8
        .size:           8
        .value_kind:     global_buffer
      - .address_space:  global
        .offset:         16
        .size:           8
        .value_kind:     global_buffer
      - .offset:         24
        .size:           4
        .value_kind:     hidden_block_count_x
      - .offset:         28
        .size:           4
        .value_kind:     hidden_block_count_y
      - .offset:         32
        .size:           4
        .value_kind:     hidden_block_count_z
      - .offset:         36
        .size:           2
        .value_kind:     hidden_group_size_x
      - .offset:         38
        .size:           2
        .value_kind:     hidden_group_size_y
      - .offset:         40
        .size:           2
        .value_kind:     hidden_group_size_z
      - .offset:         42
        .size:           2
        .value_kind:     hidden_remainder_x
      - .offset:         44
        .size:           2
        .value_kind:     hidden_remainder_y
      - .offset:         46
        .size:           2
        .value_kind:     hidden_remainder_z
      - .offset:         64
        .size:           8
        .value_kind:     hidden_global_offset_x
      - .offset:         72
        .size:           8
        .value_kind:     hidden_global_offset_y
      - .offset:         80
        .size:           8
        .value_kind:     hidden_global_offset_z
      - .offset:         88
        .size:           2
        .value_kind:     hidden_grid_dims
    .group_segment_fixed_size: 0
    .kernarg_segment_align: 8
    .kernarg_segment_size: 280
    .language:       OpenCL C
    .language_version:
      - 2
      - 0
    .max_flat_workgroup_size: 1024
    .name:           _Z22testAtomicAdd_divValueIjEvPT_PbS1_
    .private_segment_fixed_size: 0
    .sgpr_count:     13
    .sgpr_spill_count: 0
    .symbol:         _Z22testAtomicAdd_divValueIjEvPT_PbS1_.kd
    .uniform_work_group_size: 1
    .uses_dynamic_stack: false
    .vgpr_count:     3
    .vgpr_spill_count: 0
    .wavefront_size: 64
  - .args:
      - .address_space:  global
        .offset:         0
        .size:           8
        .value_kind:     global_buffer
      - .address_space:  global
        .offset:         8
        .size:           8
        .value_kind:     global_buffer
      - .address_space:  global
        .offset:         16
        .size:           8
        .value_kind:     global_buffer
      - .offset:         24
        .size:           4
        .value_kind:     hidden_block_count_x
      - .offset:         28
        .size:           4
        .value_kind:     hidden_block_count_y
      - .offset:         32
        .size:           4
        .value_kind:     hidden_block_count_z
      - .offset:         36
        .size:           2
        .value_kind:     hidden_group_size_x
      - .offset:         38
        .size:           2
        .value_kind:     hidden_group_size_y
      - .offset:         40
        .size:           2
        .value_kind:     hidden_group_size_z
      - .offset:         42
        .size:           2
        .value_kind:     hidden_remainder_x
      - .offset:         44
        .size:           2
        .value_kind:     hidden_remainder_y
      - .offset:         46
        .size:           2
        .value_kind:     hidden_remainder_z
      - .offset:         64
        .size:           8
        .value_kind:     hidden_global_offset_x
      - .offset:         72
        .size:           8
        .value_kind:     hidden_global_offset_y
      - .offset:         80
        .size:           8
        .value_kind:     hidden_global_offset_z
      - .offset:         88
        .size:           2
        .value_kind:     hidden_grid_dims
    .group_segment_fixed_size: 0
    .kernarg_segment_align: 8
    .kernarg_segment_size: 280
    .language:       OpenCL C
    .language_version:
      - 2
      - 0
    .max_flat_workgroup_size: 1024
    .name:           _Z22testAtomicSub_divValueIjEvPT_PbS1_
    .private_segment_fixed_size: 0
    .sgpr_count:     13
    .sgpr_spill_count: 0
    .symbol:         _Z22testAtomicSub_divValueIjEvPT_PbS1_.kd
    .uniform_work_group_size: 1
    .uses_dynamic_stack: false
    .vgpr_count:     3
    .vgpr_spill_count: 0
    .wavefront_size: 64
  - .args:
      - .address_space:  global
        .offset:         0
        .size:           8
        .value_kind:     global_buffer
      - .address_space:  global
        .offset:         8
        .size:           8
        .value_kind:     global_buffer
      - .address_space:  global
        .offset:         16
        .size:           8
        .value_kind:     global_buffer
      - .offset:         24
        .size:           4
        .value_kind:     hidden_block_count_x
      - .offset:         28
        .size:           4
        .value_kind:     hidden_block_count_y
      - .offset:         32
        .size:           4
        .value_kind:     hidden_block_count_z
      - .offset:         36
        .size:           2
        .value_kind:     hidden_group_size_x
      - .offset:         38
        .size:           2
        .value_kind:     hidden_group_size_y
      - .offset:         40
        .size:           2
        .value_kind:     hidden_group_size_z
      - .offset:         42
        .size:           2
        .value_kind:     hidden_remainder_x
      - .offset:         44
        .size:           2
        .value_kind:     hidden_remainder_y
      - .offset:         46
        .size:           2
        .value_kind:     hidden_remainder_z
      - .offset:         64
        .size:           8
        .value_kind:     hidden_global_offset_x
      - .offset:         72
        .size:           8
        .value_kind:     hidden_global_offset_y
      - .offset:         80
        .size:           8
        .value_kind:     hidden_global_offset_z
      - .offset:         88
        .size:           2
        .value_kind:     hidden_grid_dims
    .group_segment_fixed_size: 0
    .kernarg_segment_align: 8
    .kernarg_segment_size: 280
    .language:       OpenCL C
    .language_version:
      - 2
      - 0
    .max_flat_workgroup_size: 1024
    .name:           _Z22testAtomicMax_divValueIjEvPT_PbS1_
    .private_segment_fixed_size: 0
    .sgpr_count:     13
    .sgpr_spill_count: 0
    .symbol:         _Z22testAtomicMax_divValueIjEvPT_PbS1_.kd
    .uniform_work_group_size: 1
    .uses_dynamic_stack: false
    .vgpr_count:     3
    .vgpr_spill_count: 0
    .wavefront_size: 64
  - .args:
      - .address_space:  global
        .offset:         0
        .size:           8
        .value_kind:     global_buffer
      - .address_space:  global
        .offset:         8
        .size:           8
        .value_kind:     global_buffer
      - .address_space:  global
        .offset:         16
        .size:           8
        .value_kind:     global_buffer
      - .offset:         24
        .size:           4
        .value_kind:     hidden_block_count_x
      - .offset:         28
        .size:           4
        .value_kind:     hidden_block_count_y
      - .offset:         32
        .size:           4
        .value_kind:     hidden_block_count_z
      - .offset:         36
        .size:           2
        .value_kind:     hidden_group_size_x
      - .offset:         38
        .size:           2
        .value_kind:     hidden_group_size_y
      - .offset:         40
        .size:           2
        .value_kind:     hidden_group_size_z
      - .offset:         42
        .size:           2
        .value_kind:     hidden_remainder_x
      - .offset:         44
        .size:           2
        .value_kind:     hidden_remainder_y
      - .offset:         46
        .size:           2
        .value_kind:     hidden_remainder_z
      - .offset:         64
        .size:           8
        .value_kind:     hidden_global_offset_x
      - .offset:         72
        .size:           8
        .value_kind:     hidden_global_offset_y
      - .offset:         80
        .size:           8
        .value_kind:     hidden_global_offset_z
      - .offset:         88
        .size:           2
        .value_kind:     hidden_grid_dims
    .group_segment_fixed_size: 0
    .kernarg_segment_align: 8
    .kernarg_segment_size: 280
    .language:       OpenCL C
    .language_version:
      - 2
      - 0
    .max_flat_workgroup_size: 1024
    .name:           _Z22testAtomicMin_divValueIjEvPT_PbS1_
    .private_segment_fixed_size: 0
    .sgpr_count:     13
    .sgpr_spill_count: 0
    .symbol:         _Z22testAtomicMin_divValueIjEvPT_PbS1_.kd
    .uniform_work_group_size: 1
    .uses_dynamic_stack: false
    .vgpr_count:     3
    .vgpr_spill_count: 0
    .wavefront_size: 64
  - .args:
      - .address_space:  global
        .offset:         0
        .size:           8
        .value_kind:     global_buffer
      - .address_space:  global
        .offset:         8
        .size:           8
        .value_kind:     global_buffer
      - .address_space:  global
        .offset:         16
        .size:           8
        .value_kind:     global_buffer
      - .offset:         24
        .size:           4
        .value_kind:     hidden_block_count_x
      - .offset:         28
        .size:           4
        .value_kind:     hidden_block_count_y
      - .offset:         32
        .size:           4
        .value_kind:     hidden_block_count_z
      - .offset:         36
        .size:           2
        .value_kind:     hidden_group_size_x
      - .offset:         38
        .size:           2
        .value_kind:     hidden_group_size_y
      - .offset:         40
        .size:           2
        .value_kind:     hidden_group_size_z
      - .offset:         42
        .size:           2
        .value_kind:     hidden_remainder_x
      - .offset:         44
        .size:           2
        .value_kind:     hidden_remainder_y
      - .offset:         46
        .size:           2
        .value_kind:     hidden_remainder_z
      - .offset:         64
        .size:           8
        .value_kind:     hidden_global_offset_x
      - .offset:         72
        .size:           8
        .value_kind:     hidden_global_offset_y
      - .offset:         80
        .size:           8
        .value_kind:     hidden_global_offset_z
      - .offset:         88
        .size:           2
        .value_kind:     hidden_grid_dims
    .group_segment_fixed_size: 0
    .kernarg_segment_align: 8
    .kernarg_segment_size: 280
    .language:       OpenCL C
    .language_version:
      - 2
      - 0
    .max_flat_workgroup_size: 1024
    .name:           _Z22testAtomicAnd_divValueIjEvPT_PbS1_
    .private_segment_fixed_size: 0
    .sgpr_count:     13
    .sgpr_spill_count: 0
    .symbol:         _Z22testAtomicAnd_divValueIjEvPT_PbS1_.kd
    .uniform_work_group_size: 1
    .uses_dynamic_stack: false
    .vgpr_count:     3
    .vgpr_spill_count: 0
    .wavefront_size: 64
  - .args:
      - .address_space:  global
        .offset:         0
        .size:           8
        .value_kind:     global_buffer
      - .address_space:  global
        .offset:         8
        .size:           8
        .value_kind:     global_buffer
      - .address_space:  global
        .offset:         16
        .size:           8
        .value_kind:     global_buffer
      - .offset:         24
        .size:           4
        .value_kind:     hidden_block_count_x
      - .offset:         28
        .size:           4
        .value_kind:     hidden_block_count_y
      - .offset:         32
        .size:           4
        .value_kind:     hidden_block_count_z
      - .offset:         36
        .size:           2
        .value_kind:     hidden_group_size_x
      - .offset:         38
        .size:           2
        .value_kind:     hidden_group_size_y
      - .offset:         40
        .size:           2
        .value_kind:     hidden_group_size_z
      - .offset:         42
        .size:           2
        .value_kind:     hidden_remainder_x
      - .offset:         44
        .size:           2
        .value_kind:     hidden_remainder_y
      - .offset:         46
        .size:           2
        .value_kind:     hidden_remainder_z
      - .offset:         64
        .size:           8
        .value_kind:     hidden_global_offset_x
      - .offset:         72
        .size:           8
        .value_kind:     hidden_global_offset_y
      - .offset:         80
        .size:           8
        .value_kind:     hidden_global_offset_z
      - .offset:         88
        .size:           2
        .value_kind:     hidden_grid_dims
    .group_segment_fixed_size: 0
    .kernarg_segment_align: 8
    .kernarg_segment_size: 280
    .language:       OpenCL C
    .language_version:
      - 2
      - 0
    .max_flat_workgroup_size: 1024
    .name:           _Z21testAtomicOr_divValueIjEvPT_PbS1_
    .private_segment_fixed_size: 0
    .sgpr_count:     13
    .sgpr_spill_count: 0
    .symbol:         _Z21testAtomicOr_divValueIjEvPT_PbS1_.kd
    .uniform_work_group_size: 1
    .uses_dynamic_stack: false
    .vgpr_count:     3
    .vgpr_spill_count: 0
    .wavefront_size: 64
  - .args:
      - .address_space:  global
        .offset:         0
        .size:           8
        .value_kind:     global_buffer
      - .address_space:  global
        .offset:         8
        .size:           8
        .value_kind:     global_buffer
      - .address_space:  global
        .offset:         16
        .size:           8
        .value_kind:     global_buffer
      - .offset:         24
        .size:           4
        .value_kind:     hidden_block_count_x
      - .offset:         28
        .size:           4
        .value_kind:     hidden_block_count_y
      - .offset:         32
        .size:           4
        .value_kind:     hidden_block_count_z
      - .offset:         36
        .size:           2
        .value_kind:     hidden_group_size_x
      - .offset:         38
        .size:           2
        .value_kind:     hidden_group_size_y
      - .offset:         40
        .size:           2
        .value_kind:     hidden_group_size_z
      - .offset:         42
        .size:           2
        .value_kind:     hidden_remainder_x
      - .offset:         44
        .size:           2
        .value_kind:     hidden_remainder_y
      - .offset:         46
        .size:           2
        .value_kind:     hidden_remainder_z
      - .offset:         64
        .size:           8
        .value_kind:     hidden_global_offset_x
      - .offset:         72
        .size:           8
        .value_kind:     hidden_global_offset_y
      - .offset:         80
        .size:           8
        .value_kind:     hidden_global_offset_z
      - .offset:         88
        .size:           2
        .value_kind:     hidden_grid_dims
    .group_segment_fixed_size: 0
    .kernarg_segment_align: 8
    .kernarg_segment_size: 280
    .language:       OpenCL C
    .language_version:
      - 2
      - 0
    .max_flat_workgroup_size: 1024
    .name:           _Z22testAtomicXor_divValueIjEvPT_PbS1_
    .private_segment_fixed_size: 0
    .sgpr_count:     13
    .sgpr_spill_count: 0
    .symbol:         _Z22testAtomicXor_divValueIjEvPT_PbS1_.kd
    .uniform_work_group_size: 1
    .uses_dynamic_stack: false
    .vgpr_count:     3
    .vgpr_spill_count: 0
    .wavefront_size: 64
amdhsa.target:   amdgcn-amd-amdhsa--gfx906
amdhsa.version:
  - 1
  - 2
...

	.end_amdgpu_metadata
